;; amdgpu-corpus repo=ROCm/rocFFT kind=compiled arch=gfx1030 opt=O3
	.text
	.amdgcn_target "amdgcn-amd-amdhsa--gfx1030"
	.amdhsa_code_object_version 6
	.protected	bluestein_single_fwd_len918_dim1_dp_op_CI_CI ; -- Begin function bluestein_single_fwd_len918_dim1_dp_op_CI_CI
	.globl	bluestein_single_fwd_len918_dim1_dp_op_CI_CI
	.p2align	8
	.type	bluestein_single_fwd_len918_dim1_dp_op_CI_CI,@function
bluestein_single_fwd_len918_dim1_dp_op_CI_CI: ; @bluestein_single_fwd_len918_dim1_dp_op_CI_CI
; %bb.0:
	v_mul_u32_u24_e32 v1, 0x283, v0
	s_mov_b64 s[62:63], s[2:3]
	s_mov_b64 s[60:61], s[0:1]
	s_load_dwordx4 s[0:3], s[4:5], 0x28
	s_add_u32 s60, s60, s7
	v_lshrrev_b32_e32 v1, 16, v1
	s_addc_u32 s61, s61, 0
	v_mov_b32_e32 v4, 0
	v_add_nc_u32_e32 v3, s6, v1
	v_mov_b32_e32 v2, v3
	buffer_store_dword v2, off, s[60:63], 0 offset:4 ; 4-byte Folded Spill
	buffer_store_dword v3, off, s[60:63], 0 offset:8 ; 4-byte Folded Spill
	s_waitcnt lgkmcnt(0)
	v_cmp_gt_u64_e32 vcc_lo, s[0:1], v[3:4]
	s_and_saveexec_b32 s0, vcc_lo
	s_cbranch_execz .LBB0_23
; %bb.1:
	s_clause 0x1
	s_load_dwordx2 s[12:13], s[4:5], 0x0
	s_load_dwordx2 s[14:15], s[4:5], 0x38
	v_mul_lo_u16 v1, 0x66, v1
	v_sub_nc_u16 v0, v0, v1
	v_and_b32_e32 v1, 0xffff, v0
	v_cmp_gt_u16_e32 vcc_lo, 54, v0
	v_lshlrev_b32_e32 v255, 4, v1
	buffer_store_dword v1, off, s[60:63], 0 ; 4-byte Folded Spill
	s_and_saveexec_b32 s1, vcc_lo
	s_cbranch_execz .LBB0_3
; %bb.2:
	s_load_dwordx2 s[6:7], s[4:5], 0x18
	s_waitcnt lgkmcnt(0)
	v_add_co_u32 v14, s0, s12, v255
	v_add_co_ci_u32_e64 v15, null, s13, 0, s0
	v_add_co_u32 v16, s0, 0x800, v14
	v_add_co_ci_u32_e64 v17, s0, 0, v15, s0
	v_add_co_u32 v28, s0, 0x1000, v14
	v_add_co_ci_u32_e64 v29, s0, 0, v15, s0
	;; [unrolled: 2-line block ×3, first 2 shown]
	v_add_co_u32 v44, s0, 0x2000, v14
	s_load_dwordx4 s[8:11], s[6:7], 0x0
	s_clause 0x2
	global_load_dwordx4 v[4:7], v255, s[12:13]
	global_load_dwordx4 v[0:3], v255, s[12:13] offset:864
	global_load_dwordx4 v[8:11], v255, s[12:13] offset:1728
	s_clause 0x2
	buffer_load_dword v12, off, s[60:63], 0 offset:4
	buffer_load_dword v13, off, s[60:63], 0 offset:8
	buffer_load_dword v19, off, s[60:63], 0
	v_add_co_ci_u32_e64 v45, s0, 0, v15, s0
	v_add_co_u32 v56, s0, 0x2800, v14
	v_add_co_ci_u32_e64 v57, s0, 0, v15, s0
	v_add_co_u32 v128, s0, 0x3000, v14
	v_add_co_ci_u32_e64 v129, s0, 0, v15, s0
	s_waitcnt lgkmcnt(0)
	s_mul_i32 s6, s9, 0x360
	s_mul_hi_u32 s7, s8, 0x360
	s_add_i32 s7, s7, s6
	s_waitcnt vmcnt(2)
	v_mov_b32_e32 v18, v12
	s_waitcnt vmcnt(0)
	v_mad_u64_u32 v[40:41], null, s8, v19, 0
	v_mad_u64_u32 v[32:33], null, s10, v18, 0
	v_mov_b32_e32 v13, v41
	v_mov_b32_e32 v12, v33
	v_mad_u64_u32 v[34:35], null, s9, v19, v[13:14]
	v_mad_u64_u32 v[20:21], null, s11, v18, v[12:13]
	s_clause 0x1
	global_load_dwordx4 v[12:15], v[16:17], off offset:544
	global_load_dwordx4 v[16:19], v[16:17], off offset:1408
	v_mov_b32_e32 v41, v34
	v_mov_b32_e32 v33, v20
	v_lshlrev_b64 v[40:41], 4, v[40:41]
	s_clause 0x2
	global_load_dwordx4 v[20:23], v[28:29], off offset:224
	global_load_dwordx4 v[24:27], v[28:29], off offset:1088
	global_load_dwordx4 v[28:31], v[28:29], off offset:1952
	v_lshlrev_b64 v[42:43], 4, v[32:33]
	s_clause 0x1
	global_load_dwordx4 v[32:35], v[36:37], off offset:768
	global_load_dwordx4 v[36:39], v[36:37], off offset:1632
	v_add_co_u32 v42, s0, s2, v42
	v_add_co_ci_u32_e64 v43, s0, s3, v43, s0
	s_mul_i32 s2, s8, 0x360
	v_add_co_u32 v60, s0, v42, v40
	v_add_co_ci_u32_e64 v61, s0, v43, v41, s0
	s_clause 0x1
	global_load_dwordx4 v[40:43], v[44:45], off offset:448
	global_load_dwordx4 v[44:47], v[44:45], off offset:1312
	v_add_co_u32 v64, s0, v60, s2
	v_add_co_ci_u32_e64 v65, s0, s7, v61, s0
	s_clause 0x1
	global_load_dwordx4 v[48:51], v[56:57], off offset:128
	global_load_dwordx4 v[52:55], v[56:57], off offset:992
	v_add_co_u32 v68, s0, v64, s2
	v_add_co_ci_u32_e64 v69, s0, s7, v65, s0
	global_load_dwordx4 v[56:59], v[56:57], off offset:1856
	v_add_co_u32 v72, s0, v68, s2
	v_add_co_ci_u32_e64 v73, s0, s7, v69, s0
	s_clause 0x1
	global_load_dwordx4 v[60:63], v[60:61], off
	global_load_dwordx4 v[64:67], v[64:65], off
	v_add_co_u32 v76, s0, v72, s2
	v_add_co_ci_u32_e64 v77, s0, s7, v73, s0
	s_clause 0x1
	global_load_dwordx4 v[68:71], v[68:69], off
	global_load_dwordx4 v[72:75], v[72:73], off
	v_add_co_u32 v80, s0, v76, s2
	v_add_co_ci_u32_e64 v81, s0, s7, v77, s0
	global_load_dwordx4 v[76:79], v[76:77], off
	v_add_co_u32 v84, s0, v80, s2
	v_add_co_ci_u32_e64 v85, s0, s7, v81, s0
	;; [unrolled: 3-line block ×11, first 2 shown]
	v_add_co_u32 v132, s0, v120, s2
	v_add_co_ci_u32_e64 v133, s0, s7, v121, s0
	global_load_dwordx4 v[116:119], v[116:117], off
	global_load_dwordx4 v[120:123], v[120:121], off
	s_clause 0x1
	global_load_dwordx4 v[124:127], v[128:129], off offset:672
	global_load_dwordx4 v[128:131], v[128:129], off offset:1536
	global_load_dwordx4 v[132:135], v[132:133], off
	s_waitcnt vmcnt(18)
	v_mul_f64 v[136:137], v[62:63], v[6:7]
	v_mul_f64 v[6:7], v[60:61], v[6:7]
	s_waitcnt vmcnt(17)
	v_mul_f64 v[138:139], v[66:67], v[2:3]
	v_mul_f64 v[140:141], v[64:65], v[2:3]
	;; [unrolled: 3-line block ×6, first 2 shown]
	v_fma_f64 v[2:3], v[60:61], v[4:5], v[136:137]
	v_fma_f64 v[4:5], v[62:63], v[4:5], -v[6:7]
	v_fma_f64 v[60:61], v[64:65], v[0:1], v[138:139]
	v_fma_f64 v[62:63], v[66:67], v[0:1], -v[140:141]
	s_waitcnt vmcnt(12)
	v_mul_f64 v[0:1], v[86:87], v[26:27]
	v_mul_f64 v[26:27], v[84:85], v[26:27]
	s_waitcnt vmcnt(11)
	v_mul_f64 v[64:65], v[90:91], v[30:31]
	v_mul_f64 v[30:31], v[88:89], v[30:31]
	v_fma_f64 v[6:7], v[68:69], v[8:9], v[142:143]
	s_waitcnt vmcnt(10)
	v_mul_f64 v[66:67], v[94:95], v[34:35]
	v_mul_f64 v[34:35], v[92:93], v[34:35]
	v_fma_f64 v[8:9], v[70:71], v[8:9], -v[10:11]
	v_fma_f64 v[10:11], v[72:73], v[12:13], v[144:145]
	v_fma_f64 v[12:13], v[74:75], v[12:13], -v[14:15]
	s_waitcnt vmcnt(9)
	v_mul_f64 v[68:69], v[98:99], v[38:39]
	v_mul_f64 v[38:39], v[96:97], v[38:39]
	v_fma_f64 v[14:15], v[76:77], v[16:17], v[146:147]
	v_fma_f64 v[16:17], v[78:79], v[16:17], -v[18:19]
	v_fma_f64 v[18:19], v[80:81], v[20:21], v[148:149]
	s_waitcnt vmcnt(8)
	v_mul_f64 v[70:71], v[102:103], v[42:43]
	v_mul_f64 v[42:43], v[100:101], v[42:43]
	v_fma_f64 v[20:21], v[82:83], v[20:21], -v[22:23]
	s_waitcnt vmcnt(7)
	v_mul_f64 v[72:73], v[106:107], v[46:47]
	v_mul_f64 v[46:47], v[104:105], v[46:47]
	v_fma_f64 v[22:23], v[84:85], v[24:25], v[0:1]
	v_fma_f64 v[24:25], v[86:87], v[24:25], -v[26:27]
	v_fma_f64 v[26:27], v[88:89], v[28:29], v[64:65]
	s_waitcnt vmcnt(6)
	v_mul_f64 v[74:75], v[110:111], v[50:51]
	v_mul_f64 v[50:51], v[108:109], v[50:51]
	v_fma_f64 v[28:29], v[90:91], v[28:29], -v[30:31]
	v_fma_f64 v[30:31], v[92:93], v[32:33], v[66:67]
	v_fma_f64 v[32:33], v[94:95], v[32:33], -v[34:35]
	s_waitcnt vmcnt(5)
	v_mul_f64 v[76:77], v[114:115], v[54:55]
	v_mul_f64 v[54:55], v[112:113], v[54:55]
	v_fma_f64 v[34:35], v[96:97], v[36:37], v[68:69]
	v_fma_f64 v[36:37], v[98:99], v[36:37], -v[38:39]
	s_waitcnt vmcnt(4)
	v_mul_f64 v[78:79], v[118:119], v[58:59]
	v_mul_f64 v[58:59], v[116:117], v[58:59]
	s_waitcnt vmcnt(2)
	v_mul_f64 v[80:81], v[122:123], v[126:127]
	v_mul_f64 v[82:83], v[120:121], v[126:127]
	;; [unrolled: 3-line block ×3, first 2 shown]
	v_fma_f64 v[38:39], v[100:101], v[40:41], v[70:71]
	v_fma_f64 v[40:41], v[102:103], v[40:41], -v[42:43]
	v_fma_f64 v[42:43], v[104:105], v[44:45], v[72:73]
	v_fma_f64 v[44:45], v[106:107], v[44:45], -v[46:47]
	v_fma_f64 v[46:47], v[108:109], v[48:49], v[74:75]
	v_fma_f64 v[48:49], v[110:111], v[48:49], -v[50:51]
	v_fma_f64 v[50:51], v[112:113], v[52:53], v[76:77]
	v_fma_f64 v[52:53], v[114:115], v[52:53], -v[54:55]
	v_fma_f64 v[54:55], v[116:117], v[56:57], v[78:79]
	v_fma_f64 v[56:57], v[118:119], v[56:57], -v[58:59]
	v_fma_f64 v[64:65], v[120:121], v[124:125], v[80:81]
	v_fma_f64 v[66:67], v[122:123], v[124:125], -v[82:83]
	v_fma_f64 v[68:69], v[132:133], v[128:129], v[126:127]
	v_fma_f64 v[70:71], v[134:135], v[128:129], -v[130:131]
	ds_write_b128 v255, v[2:5]
	ds_write_b128 v255, v[60:63] offset:864
	ds_write_b128 v255, v[6:9] offset:1728
	;; [unrolled: 1-line block ×16, first 2 shown]
.LBB0_3:
	s_or_b32 exec_lo, exec_lo, s1
	s_clause 0x1
	s_load_dwordx2 s[0:1], s[4:5], 0x20
	s_load_dwordx2 s[2:3], s[4:5], 0x8
	s_waitcnt lgkmcnt(0)
	s_waitcnt_vscnt null, 0x0
	s_barrier
	buffer_gl0_inv
                                        ; implicit-def: $vgpr32_vgpr33
                                        ; implicit-def: $vgpr48_vgpr49
                                        ; implicit-def: $vgpr52_vgpr53
                                        ; implicit-def: $vgpr56_vgpr57
                                        ; implicit-def: $vgpr60_vgpr61
                                        ; implicit-def: $vgpr64_vgpr65
                                        ; implicit-def: $vgpr68_vgpr69
                                        ; implicit-def: $vgpr72_vgpr73
                                        ; implicit-def: $vgpr84_vgpr85
                                        ; implicit-def: $vgpr88_vgpr89
                                        ; implicit-def: $vgpr92_vgpr93
                                        ; implicit-def: $vgpr96_vgpr97
                                        ; implicit-def: $vgpr76_vgpr77
                                        ; implicit-def: $vgpr44_vgpr45
                                        ; implicit-def: $vgpr40_vgpr41
                                        ; implicit-def: $vgpr36_vgpr37
                                        ; implicit-def: $vgpr28_vgpr29
	s_and_saveexec_b32 s4, vcc_lo
	s_cbranch_execz .LBB0_5
; %bb.4:
	ds_read_b128 v[32:35], v255
	ds_read_b128 v[48:51], v255 offset:864
	ds_read_b128 v[52:55], v255 offset:1728
	;; [unrolled: 1-line block ×16, first 2 shown]
.LBB0_5:
	s_or_b32 exec_lo, exec_lo, s4
	s_waitcnt lgkmcnt(0)
	v_add_f64 v[80:81], v[50:51], -v[30:31]
	v_add_f64 v[82:83], v[48:49], -v[28:29]
	s_mov_b32 s24, 0x5d8e7cdc
	s_mov_b32 s25, 0xbfd71e95
	v_add_f64 v[112:113], v[54:55], -v[38:39]
	v_add_f64 v[106:107], v[52:53], -v[36:37]
	s_mov_b32 s26, 0x2a9d6da3
	s_mov_b32 s27, 0xbfe58eea
	;; [unrolled: 4-line block ×3, first 2 shown]
	v_add_f64 v[157:158], v[48:49], v[28:29]
	v_add_f64 v[161:162], v[50:51], v[30:31]
	s_mov_b32 s4, 0x370991
	s_mov_b32 s5, 0x3fedd6d0
	v_add_f64 v[100:101], v[52:53], v[36:37]
	v_add_f64 v[102:103], v[54:55], v[38:39]
	s_mov_b32 s6, 0x75d4884
	s_mov_b32 s7, 0x3fe7a5f6
	v_add_f64 v[108:109], v[58:59], v[42:43]
	s_mov_b32 s8, 0x2b2883cd
	v_mul_f64 v[0:1], v[80:81], s[24:25]
	v_mul_f64 v[2:3], v[82:83], s[24:25]
	s_mov_b32 s9, 0x3fdc86fa
	v_add_f64 v[237:238], v[62:63], -v[46:47]
	v_mul_f64 v[4:5], v[112:113], s[26:27]
	v_mul_f64 v[6:7], v[106:107], s[26:27]
	v_add_f64 v[239:240], v[60:61], -v[44:45]
	s_mov_b32 s28, 0xeb564b22
	v_mul_f64 v[8:9], v[114:115], s[36:37]
	v_mul_f64 v[12:13], v[116:117], s[36:37]
	s_mov_b32 s29, 0xbfefdd0d
	v_add_f64 v[120:121], v[62:63], v[46:47]
	s_mov_b32 s10, 0x3259b75e
	s_mov_b32 s11, 0x3fb79ee6
	v_add_f64 v[243:244], v[66:67], -v[78:79]
	s_mov_b32 s30, 0x923c349f
	s_mov_b32 s31, 0xbfeec746
	v_add_f64 v[104:105], v[56:57], v[40:41]
	v_add_f64 v[110:111], v[60:61], v[44:45]
	;; [unrolled: 1-line block ×3, first 2 shown]
	s_mov_b32 s18, 0xc61f0d01
	s_mov_b32 s19, 0xbfd183b1
	buffer_store_dword v0, off, s[60:63], 0 offset:168 ; 4-byte Folded Spill
	buffer_store_dword v1, off, s[60:63], 0 offset:172 ; 4-byte Folded Spill
	;; [unrolled: 1-line block ×12, first 2 shown]
	v_mul_f64 v[10:11], v[237:238], s[28:29]
	buffer_store_dword v10, off, s[60:63], 0 offset:56 ; 4-byte Folded Spill
	buffer_store_dword v11, off, s[60:63], 0 offset:60 ; 4-byte Folded Spill
	v_add_f64 v[249:250], v[64:65], -v[76:77]
	v_add_f64 v[138:139], v[66:67], v[78:79]
	v_add_f64 v[124:125], v[70:71], -v[98:99]
	s_mov_b32 s34, 0x6c9a05f6
	s_mov_b32 s35, 0xbfe9895b
	v_add_f64 v[130:131], v[68:69], v[96:97]
	s_mov_b32 s16, 0x6ed5f1bb
	s_mov_b32 s17, 0xbfe348c8
	v_add_f64 v[128:129], v[68:69], -v[96:97]
	v_add_f64 v[134:135], v[70:71], v[98:99]
	v_add_f64 v[132:133], v[74:75], -v[94:95]
	s_mov_b32 s38, 0x4363dd80
	s_mov_b32 s39, 0xbfe0d888
	v_add_f64 v[142:143], v[72:73], v[92:93]
	s_mov_b32 s20, 0x910ea3b9
	s_mov_b32 s21, 0xbfeb34fa
	;; [unrolled: 8-line block ×3, first 2 shown]
	v_add_f64 v[144:145], v[84:85], -v[88:89]
	v_add_f64 v[155:156], v[86:87], v[90:91]
	s_mov_b32 s51, 0x3fe0d888
	s_mov_b32 s50, s38
	;; [unrolled: 1-line block ×10, first 2 shown]
	v_mul_f64 v[153:154], v[80:81], s[36:37]
	v_mul_f64 v[159:160], v[82:83], s[36:37]
	;; [unrolled: 1-line block ×4, first 2 shown]
	s_mov_b32 s53, 0x3fe9895b
	s_mov_b32 s52, s34
	v_mul_f64 v[197:198], v[80:81], s[30:31]
	v_mul_f64 v[201:202], v[82:83], s[30:31]
	;; [unrolled: 1-line block ×26, first 2 shown]
	v_fma_f64 v[22:23], v[100:101], s[18:19], v[163:164]
	v_mul_f64 v[217:218], v[249:250], s[24:25]
	v_fma_f64 v[24:25], v[102:103], s[18:19], -v[169:170]
	v_mul_f64 v[211:212], v[124:125], s[40:41]
	v_mul_f64 v[221:222], v[128:129], s[40:41]
	;; [unrolled: 1-line block ×10, first 2 shown]
	v_fma_f64 v[26:27], v[100:101], s[8:9], v[195:196]
	v_fma_f64 v[118:119], v[102:103], s[8:9], -v[205:206]
	v_fma_f64 v[0:1], v[157:158], s[4:5], v[0:1]
	v_fma_f64 v[2:3], v[161:162], s[4:5], -v[2:3]
	;; [unrolled: 2-line block ×3, first 2 shown]
	v_fma_f64 v[8:9], v[104:105], s[8:9], v[8:9]
	v_add_f64 v[0:1], v[32:33], v[0:1]
	v_add_f64 v[2:3], v[34:35], v[2:3]
	;; [unrolled: 1-line block ×3, first 2 shown]
	v_fma_f64 v[4:5], v[108:109], s[8:9], -v[12:13]
	v_add_f64 v[2:3], v[6:7], v[2:3]
	v_fma_f64 v[6:7], v[110:111], s[10:11], v[10:11]
	v_add_f64 v[0:1], v[8:9], v[0:1]
	v_add_f64 v[2:3], v[4:5], v[2:3]
	v_mul_f64 v[4:5], v[239:240], s[28:29]
	buffer_store_dword v4, off, s[60:63], 0 offset:96 ; 4-byte Folded Spill
	buffer_store_dword v5, off, s[60:63], 0 offset:100 ; 4-byte Folded Spill
	v_add_f64 v[0:1], v[6:7], v[0:1]
	v_fma_f64 v[4:5], v[120:121], s[10:11], -v[4:5]
	v_add_f64 v[2:3], v[4:5], v[2:3]
	v_mul_f64 v[4:5], v[243:244], s[30:31]
	buffer_store_dword v4, off, s[60:63], 0 offset:104 ; 4-byte Folded Spill
	buffer_store_dword v5, off, s[60:63], 0 offset:108 ; 4-byte Folded Spill
	v_fma_f64 v[4:5], v[126:127], s[18:19], v[4:5]
	v_add_f64 v[0:1], v[4:5], v[0:1]
	v_mul_f64 v[4:5], v[249:250], s[30:31]
	buffer_store_dword v4, off, s[60:63], 0 offset:128 ; 4-byte Folded Spill
	buffer_store_dword v5, off, s[60:63], 0 offset:132 ; 4-byte Folded Spill
	v_fma_f64 v[4:5], v[138:139], s[18:19], -v[4:5]
	v_add_f64 v[2:3], v[4:5], v[2:3]
	v_mul_f64 v[4:5], v[124:125], s[34:35]
	buffer_store_dword v4, off, s[60:63], 0 offset:112 ; 4-byte Folded Spill
	buffer_store_dword v5, off, s[60:63], 0 offset:116 ; 4-byte Folded Spill
	v_fma_f64 v[4:5], v[130:131], s[16:17], v[4:5]
	v_add_f64 v[0:1], v[4:5], v[0:1]
	v_mul_f64 v[4:5], v[128:129], s[34:35]
	buffer_store_dword v4, off, s[60:63], 0 offset:120 ; 4-byte Folded Spill
	buffer_store_dword v5, off, s[60:63], 0 offset:124 ; 4-byte Folded Spill
	;; [unrolled: 10-line block ×4, first 2 shown]
	v_fma_f64 v[4:5], v[155:156], s[22:23], -v[4:5]
	v_add_f64 v[2:3], v[4:5], v[2:3]
	buffer_store_dword v0, off, s[60:63], 0 offset:12 ; 4-byte Folded Spill
	buffer_store_dword v1, off, s[60:63], 0 offset:16 ; 4-byte Folded Spill
	;; [unrolled: 1-line block ×4, first 2 shown]
	v_mul_f64 v[0:1], v[80:81], s[26:27]
	v_mul_f64 v[2:3], v[140:141], s[44:45]
	buffer_store_dword v0, off, s[60:63], 0 offset:560 ; 4-byte Folded Spill
	buffer_store_dword v1, off, s[60:63], 0 offset:564 ; 4-byte Folded Spill
	v_fma_f64 v[4:5], v[157:158], s[6:7], v[0:1]
	v_mul_f64 v[0:1], v[112:113], s[28:29]
	buffer_store_dword v0, off, s[60:63], 0 offset:304 ; 4-byte Folded Spill
	buffer_store_dword v1, off, s[60:63], 0 offset:308 ; 4-byte Folded Spill
	v_add_f64 v[4:5], v[32:33], v[4:5]
	v_fma_f64 v[6:7], v[100:101], s[10:11], v[0:1]
	v_mul_f64 v[0:1], v[82:83], s[26:27]
	v_fma_f64 v[82:83], v[161:162], s[22:23], -v[122:123]
	buffer_store_dword v0, off, s[60:63], 0 offset:568 ; 4-byte Folded Spill
	buffer_store_dword v1, off, s[60:63], 0 offset:572 ; 4-byte Folded Spill
	v_add_f64 v[4:5], v[6:7], v[4:5]
	v_add_f64 v[82:83], v[34:35], v[82:83]
	v_fma_f64 v[6:7], v[161:162], s[6:7], -v[0:1]
	v_mul_f64 v[0:1], v[106:107], s[28:29]
	buffer_store_dword v0, off, s[60:63], 0 offset:344 ; 4-byte Folded Spill
	buffer_store_dword v1, off, s[60:63], 0 offset:348 ; 4-byte Folded Spill
	v_add_f64 v[6:7], v[34:35], v[6:7]
	v_fma_f64 v[8:9], v[102:103], s[10:11], -v[0:1]
	v_mul_f64 v[0:1], v[114:115], s[34:35]
	buffer_store_dword v0, off, s[60:63], 0 offset:312 ; 4-byte Folded Spill
	buffer_store_dword v1, off, s[60:63], 0 offset:316 ; 4-byte Folded Spill
	v_add_f64 v[6:7], v[8:9], v[6:7]
	v_fma_f64 v[8:9], v[104:105], s[16:17], v[0:1]
	v_mul_f64 v[0:1], v[116:117], s[34:35]
	buffer_store_dword v0, off, s[60:63], 0 offset:336 ; 4-byte Folded Spill
	buffer_store_dword v1, off, s[60:63], 0 offset:340 ; 4-byte Folded Spill
	v_add_f64 v[4:5], v[8:9], v[4:5]
	v_fma_f64 v[8:9], v[108:109], s[16:17], -v[0:1]
	v_mul_f64 v[0:1], v[237:238], s[40:41]
	buffer_store_dword v0, off, s[60:63], 0 offset:288 ; 4-byte Folded Spill
	buffer_store_dword v1, off, s[60:63], 0 offset:292 ; 4-byte Folded Spill
	v_add_f64 v[6:7], v[8:9], v[6:7]
	v_fma_f64 v[8:9], v[110:111], s[22:23], v[0:1]
	;; [unrolled: 10-line block ×6, first 2 shown]
	v_add_f64 v[4:5], v[8:9], v[4:5]
	v_fma_f64 v[8:9], v[155:156], s[4:5], -v[0:1]
	v_mul_f64 v[0:1], v[112:113], s[34:35]
	buffer_store_dword v0, off, s[60:63], 0 offset:416 ; 4-byte Folded Spill
	buffer_store_dword v1, off, s[60:63], 0 offset:420 ; 4-byte Folded Spill
	v_add_f64 v[6:7], v[8:9], v[6:7]
	v_fma_f64 v[8:9], v[157:158], s[8:9], v[153:154]
	v_add_f64 v[8:9], v[32:33], v[8:9]
	v_fma_f64 v[10:11], v[100:101], s[16:17], v[0:1]
	v_mul_f64 v[0:1], v[106:107], s[34:35]
	buffer_store_dword v0, off, s[60:63], 0 offset:448 ; 4-byte Folded Spill
	buffer_store_dword v1, off, s[60:63], 0 offset:452 ; 4-byte Folded Spill
	v_add_f64 v[8:9], v[10:11], v[8:9]
	v_fma_f64 v[10:11], v[161:162], s[8:9], -v[159:160]
	v_add_f64 v[10:11], v[34:35], v[10:11]
	v_fma_f64 v[12:13], v[102:103], s[16:17], -v[0:1]
	v_mul_f64 v[0:1], v[114:115], s[46:47]
	buffer_store_dword v0, off, s[60:63], 0 offset:424 ; 4-byte Folded Spill
	buffer_store_dword v1, off, s[60:63], 0 offset:428 ; 4-byte Folded Spill
	v_add_f64 v[10:11], v[12:13], v[10:11]
	v_fma_f64 v[12:13], v[104:105], s[22:23], v[0:1]
	v_mul_f64 v[0:1], v[116:117], s[46:47]
	buffer_store_dword v0, off, s[60:63], 0 offset:456 ; 4-byte Folded Spill
	buffer_store_dword v1, off, s[60:63], 0 offset:460 ; 4-byte Folded Spill
	v_add_f64 v[8:9], v[12:13], v[8:9]
	s_mov_b32 s47, 0x3fe58eea
	s_mov_b32 s46, s26
	v_mul_f64 v[215:216], v[132:133], s[46:47]
	v_mul_f64 v[223:224], v[136:137], s[46:47]
	;; [unrolled: 1-line block ×3, first 2 shown]
	v_fma_f64 v[12:13], v[108:109], s[22:23], -v[0:1]
	v_mul_f64 v[0:1], v[237:238], s[48:49]
	buffer_store_dword v0, off, s[60:63], 0 offset:408 ; 4-byte Folded Spill
	buffer_store_dword v1, off, s[60:63], 0 offset:412 ; 4-byte Folded Spill
	v_add_f64 v[10:11], v[12:13], v[10:11]
	v_fma_f64 v[12:13], v[110:111], s[18:19], v[0:1]
	v_mul_f64 v[0:1], v[239:240], s[48:49]
	buffer_store_dword v0, off, s[60:63], 0 offset:464 ; 4-byte Folded Spill
	buffer_store_dword v1, off, s[60:63], 0 offset:468 ; 4-byte Folded Spill
	v_add_f64 v[8:9], v[12:13], v[8:9]
	v_fma_f64 v[12:13], v[120:121], s[18:19], -v[0:1]
	v_mul_f64 v[0:1], v[243:244], s[46:47]
	buffer_store_dword v0, off, s[60:63], 0 offset:400 ; 4-byte Folded Spill
	buffer_store_dword v1, off, s[60:63], 0 offset:404 ; 4-byte Folded Spill
	v_add_f64 v[10:11], v[12:13], v[10:11]
	v_fma_f64 v[12:13], v[126:127], s[6:7], v[0:1]
	v_mul_f64 v[0:1], v[249:250], s[46:47]
	buffer_store_dword v0, off, s[60:63], 0 offset:480 ; 4-byte Folded Spill
	buffer_store_dword v1, off, s[60:63], 0 offset:484 ; 4-byte Folded Spill
	v_add_f64 v[8:9], v[12:13], v[8:9]
	;; [unrolled: 10-line block ×5, first 2 shown]
	v_fma_f64 v[12:13], v[155:156], s[20:21], -v[0:1]
	v_mul_f64 v[0:1], v[112:113], s[40:41]
	buffer_store_dword v0, off, s[60:63], 0 offset:496 ; 4-byte Folded Spill
	buffer_store_dword v1, off, s[60:63], 0 offset:500 ; 4-byte Folded Spill
	v_add_f64 v[10:11], v[12:13], v[10:11]
	v_fma_f64 v[12:13], v[157:158], s[10:11], v[175:176]
	v_add_f64 v[12:13], v[32:33], v[12:13]
	v_fma_f64 v[14:15], v[100:101], s[22:23], v[0:1]
	v_mul_f64 v[0:1], v[106:107], s[40:41]
	buffer_store_dword v0, off, s[60:63], 0 offset:512 ; 4-byte Folded Spill
	buffer_store_dword v1, off, s[60:63], 0 offset:516 ; 4-byte Folded Spill
	v_add_f64 v[12:13], v[14:15], v[12:13]
	v_fma_f64 v[14:15], v[161:162], s[10:11], -v[181:182]
	v_add_f64 v[14:15], v[34:35], v[14:15]
	v_fma_f64 v[16:17], v[102:103], s[22:23], -v[0:1]
	v_mul_f64 v[0:1], v[114:115], s[48:49]
	buffer_store_dword v0, off, s[60:63], 0 offset:504 ; 4-byte Folded Spill
	buffer_store_dword v1, off, s[60:63], 0 offset:508 ; 4-byte Folded Spill
	v_add_f64 v[14:15], v[16:17], v[14:15]
	v_fma_f64 v[16:17], v[104:105], s[18:19], v[0:1]
	v_mul_f64 v[0:1], v[116:117], s[48:49]
	buffer_store_dword v0, off, s[60:63], 0 offset:528 ; 4-byte Folded Spill
	buffer_store_dword v1, off, s[60:63], 0 offset:532 ; 4-byte Folded Spill
	v_add_f64 v[12:13], v[16:17], v[12:13]
	v_fma_f64 v[16:17], v[108:109], s[18:19], -v[0:1]
	v_mul_f64 v[0:1], v[237:238], s[44:45]
	buffer_store_dword v0, off, s[60:63], 0 offset:520 ; 4-byte Folded Spill
	buffer_store_dword v1, off, s[60:63], 0 offset:524 ; 4-byte Folded Spill
	v_add_f64 v[14:15], v[16:17], v[14:15]
	v_fma_f64 v[16:17], v[110:111], s[4:5], v[0:1]
	v_mul_f64 v[0:1], v[239:240], s[44:45]
	buffer_store_dword v0, off, s[60:63], 0 offset:544 ; 4-byte Folded Spill
	buffer_store_dword v1, off, s[60:63], 0 offset:548 ; 4-byte Folded Spill
	;; [unrolled: 10-line block ×6, first 2 shown]
	v_add_f64 v[12:13], v[16:17], v[12:13]
	v_fma_f64 v[16:17], v[155:156], s[6:7], -v[0:1]
	v_mul_f64 v[0:1], v[112:113], s[50:51]
	buffer_store_dword v0, off, s[60:63], 0 offset:576 ; 4-byte Folded Spill
	buffer_store_dword v1, off, s[60:63], 0 offset:580 ; 4-byte Folded Spill
	v_add_f64 v[14:15], v[16:17], v[14:15]
	v_fma_f64 v[16:17], v[157:158], s[18:19], v[197:198]
	v_fma_f64 v[112:113], v[100:101], s[4:5], v[231:232]
	v_add_f64 v[16:17], v[32:33], v[16:17]
	v_fma_f64 v[18:19], v[100:101], s[20:21], v[0:1]
	v_mul_f64 v[0:1], v[106:107], s[50:51]
	buffer_store_dword v0, off, s[60:63], 0 offset:592 ; 4-byte Folded Spill
	buffer_store_dword v1, off, s[60:63], 0 offset:596 ; 4-byte Folded Spill
	v_add_f64 v[16:17], v[18:19], v[16:17]
	v_fma_f64 v[18:19], v[161:162], s[18:19], -v[201:202]
	v_fma_f64 v[106:107], v[102:103], s[4:5], -v[235:236]
	v_add_f64 v[18:19], v[34:35], v[18:19]
	v_add_f64 v[82:83], v[106:107], v[82:83]
	v_fma_f64 v[106:107], v[104:105], s[20:21], v[233:234]
	v_fma_f64 v[20:21], v[102:103], s[20:21], -v[0:1]
	v_mul_f64 v[0:1], v[114:115], s[46:47]
	buffer_store_dword v0, off, s[60:63], 0 offset:584 ; 4-byte Folded Spill
	buffer_store_dword v1, off, s[60:63], 0 offset:588 ; 4-byte Folded Spill
	v_add_f64 v[18:19], v[20:21], v[18:19]
	v_mul_f64 v[114:115], v[136:137], s[30:31]
	v_fma_f64 v[20:21], v[104:105], s[6:7], v[0:1]
	v_mul_f64 v[0:1], v[116:117], s[46:47]
	buffer_store_dword v0, off, s[60:63], 0 offset:608 ; 4-byte Folded Spill
	buffer_store_dword v1, off, s[60:63], 0 offset:612 ; 4-byte Folded Spill
	v_add_f64 v[16:17], v[20:21], v[16:17]
	v_fma_f64 v[20:21], v[108:109], s[6:7], -v[0:1]
	v_mul_f64 v[0:1], v[237:238], s[36:37]
	buffer_store_dword v0, off, s[60:63], 0 offset:600 ; 4-byte Folded Spill
	buffer_store_dword v1, off, s[60:63], 0 offset:604 ; 4-byte Folded Spill
	v_add_f64 v[18:19], v[20:21], v[18:19]
	v_mul_f64 v[237:238], v[237:238], s[46:47]
	v_fma_f64 v[20:21], v[110:111], s[8:9], v[0:1]
	v_mul_f64 v[0:1], v[239:240], s[36:37]
	buffer_store_dword v0, off, s[60:63], 0 offset:624 ; 4-byte Folded Spill
	buffer_store_dword v1, off, s[60:63], 0 offset:628 ; 4-byte Folded Spill
	v_add_f64 v[16:17], v[20:21], v[16:17]
	s_mov_b32 s37, 0x3fefdd0d
	s_mov_b32 s36, s28
	v_mul_f64 v[239:240], v[243:244], s[34:35]
	v_mul_f64 v[171:172], v[243:244], s[36:37]
	;; [unrolled: 1-line block ×5, first 2 shown]
	v_fma_f64 v[20:21], v[120:121], s[8:9], -v[0:1]
	v_mul_f64 v[0:1], v[243:244], s[40:41]
	buffer_store_dword v0, off, s[60:63], 0 offset:616 ; 4-byte Folded Spill
	buffer_store_dword v1, off, s[60:63], 0 offset:620 ; 4-byte Folded Spill
	v_add_f64 v[18:19], v[20:21], v[18:19]
	v_mul_f64 v[243:244], v[124:125], s[42:43]
	v_fma_f64 v[20:21], v[126:127], s[22:23], v[0:1]
	v_mul_f64 v[0:1], v[124:125], s[36:37]
	buffer_store_dword v0, off, s[60:63], 0 offset:472 ; 4-byte Folded Spill
	buffer_store_dword v1, off, s[60:63], 0 offset:476 ; 4-byte Folded Spill
	v_add_f64 v[16:17], v[20:21], v[16:17]
	v_fma_f64 v[20:21], v[138:139], s[22:23], -v[148:149]
	v_add_f64 v[18:19], v[20:21], v[18:19]
	v_fma_f64 v[20:21], v[130:131], s[10:11], v[0:1]
	v_mul_f64 v[0:1], v[128:129], s[36:37]
	buffer_store_dword v0, off, s[60:63], 0 offset:488 ; 4-byte Folded Spill
	buffer_store_dword v1, off, s[60:63], 0 offset:492 ; 4-byte Folded Spill
	v_add_f64 v[16:17], v[20:21], v[16:17]
	v_fma_f64 v[20:21], v[134:135], s[10:11], -v[0:1]
	v_mul_f64 v[0:1], v[132:133], s[24:25]
	buffer_store_dword v0, off, s[60:63], 0 offset:432 ; 4-byte Folded Spill
	buffer_store_dword v1, off, s[60:63], 0 offset:436 ; 4-byte Folded Spill
	v_add_f64 v[18:19], v[20:21], v[18:19]
	v_fma_f64 v[20:21], v[142:143], s[4:5], v[0:1]
	v_mul_f64 v[0:1], v[136:137], s[24:25]
	buffer_store_dword v0, off, s[60:63], 0 offset:440 ; 4-byte Folded Spill
	buffer_store_dword v1, off, s[60:63], 0 offset:444 ; 4-byte Folded Spill
	v_add_f64 v[16:17], v[20:21], v[16:17]
	v_fma_f64 v[20:21], v[146:147], s[4:5], -v[0:1]
	v_mul_f64 v[0:1], v[140:141], s[34:35]
	buffer_store_dword v0, off, s[60:63], 0 offset:384 ; 4-byte Folded Spill
	buffer_store_dword v1, off, s[60:63], 0 offset:388 ; 4-byte Folded Spill
	v_add_f64 v[18:19], v[20:21], v[18:19]
	v_fma_f64 v[20:21], v[151:152], s[16:17], v[0:1]
	v_mul_f64 v[0:1], v[144:145], s[34:35]
	buffer_store_dword v0, off, s[60:63], 0 offset:392 ; 4-byte Folded Spill
	buffer_store_dword v1, off, s[60:63], 0 offset:396 ; 4-byte Folded Spill
	v_add_f64 v[16:17], v[20:21], v[16:17]
	s_waitcnt_vscnt null, 0x0
	s_barrier
	buffer_gl0_inv
	v_fma_f64 v[20:21], v[155:156], s[16:17], -v[0:1]
	buffer_load_dword v0, off, s[60:63], 0  ; 4-byte Folded Reload
	v_add_f64 v[18:19], v[20:21], v[18:19]
	v_fma_f64 v[20:21], v[157:158], s[16:17], v[225:226]
	v_add_f64 v[20:21], v[32:33], v[20:21]
	v_add_f64 v[20:21], v[22:23], v[20:21]
	v_fma_f64 v[22:23], v[161:162], s[16:17], -v[229:230]
	v_add_f64 v[22:23], v[34:35], v[22:23]
	v_add_f64 v[22:23], v[24:25], v[22:23]
	v_fma_f64 v[24:25], v[104:105], s[4:5], v[165:166]
	v_add_f64 v[20:21], v[24:25], v[20:21]
	v_fma_f64 v[24:25], v[108:109], s[4:5], -v[173:174]
	v_add_f64 v[22:23], v[24:25], v[22:23]
	v_fma_f64 v[24:25], v[110:111], s[20:21], v[167:168]
	v_add_f64 v[20:21], v[24:25], v[20:21]
	v_fma_f64 v[24:25], v[120:121], s[20:21], -v[179:180]
	;; [unrolled: 4-line block ×5, first 2 shown]
	s_waitcnt vmcnt(0)
	v_mul_lo_u16 v0, v0, 17
	buffer_store_dword v0, off, s[60:63], 0 offset:28 ; 4-byte Folded Spill
	v_add_f64 v[22:23], v[24:25], v[22:23]
	v_fma_f64 v[24:25], v[151:152], s[8:9], v[187:188]
	v_add_f64 v[20:21], v[24:25], v[20:21]
	v_fma_f64 v[24:25], v[155:156], s[8:9], -v[193:194]
	v_add_f64 v[22:23], v[24:25], v[22:23]
	v_fma_f64 v[24:25], v[157:158], s[20:21], v[247:248]
	v_add_f64 v[24:25], v[32:33], v[24:25]
	v_add_f64 v[24:25], v[26:27], v[24:25]
	v_fma_f64 v[26:27], v[161:162], s[20:21], -v[253:254]
	v_add_f64 v[26:27], v[34:35], v[26:27]
	v_add_f64 v[26:27], v[118:119], v[26:27]
	v_fma_f64 v[118:119], v[104:105], s[10:11], v[199:200]
	v_add_f64 v[24:25], v[118:119], v[24:25]
	v_fma_f64 v[118:119], v[108:109], s[10:11], -v[209:210]
	v_add_f64 v[26:27], v[118:119], v[26:27]
	v_fma_f64 v[118:119], v[110:111], s[16:17], v[203:204]
	v_add_f64 v[24:25], v[118:119], v[24:25]
	v_fma_f64 v[118:119], v[120:121], s[16:17], -v[213:214]
	;; [unrolled: 4-line block ×6, first 2 shown]
	v_add_f64 v[26:27], v[118:119], v[26:27]
	v_mul_f64 v[118:119], v[80:81], s[40:41]
	v_fma_f64 v[80:81], v[157:158], s[22:23], v[118:119]
	v_add_f64 v[80:81], v[32:33], v[80:81]
	v_add_f64 v[80:81], v[112:113], v[80:81]
	v_mul_f64 v[112:113], v[128:129], s[42:43]
	v_add_f64 v[80:81], v[106:107], v[80:81]
	v_fma_f64 v[106:107], v[108:109], s[20:21], -v[241:242]
	v_add_f64 v[82:83], v[106:107], v[82:83]
	v_fma_f64 v[106:107], v[110:111], s[6:7], v[237:238]
	v_add_f64 v[80:81], v[106:107], v[80:81]
	v_fma_f64 v[106:107], v[120:121], s[6:7], -v[245:246]
	v_add_f64 v[82:83], v[106:107], v[82:83]
	v_fma_f64 v[106:107], v[126:127], s[16:17], v[239:240]
	;; [unrolled: 4-line block ×4, first 2 shown]
	v_add_f64 v[80:81], v[106:107], v[80:81]
	v_fma_f64 v[106:107], v[146:147], s[18:19], -v[114:115]
	v_add_f64 v[82:83], v[106:107], v[82:83]
	v_mul_f64 v[106:107], v[140:141], s[36:37]
	v_fma_f64 v[124:125], v[151:152], s[10:11], v[106:107]
	v_add_f64 v[80:81], v[124:125], v[80:81]
	v_fma_f64 v[124:125], v[155:156], s[10:11], -v[116:117]
	v_add_f64 v[82:83], v[124:125], v[82:83]
	s_and_saveexec_b32 s24, vcc_lo
	s_cbranch_execz .LBB0_7
; %bb.6:
	s_clause 0x1
	buffer_load_dword v0, off, s[60:63], 0 offset:568
	buffer_load_dword v1, off, s[60:63], 0 offset:572
	v_add_f64 v[48:49], v[32:33], v[48:49]
	v_add_f64 v[50:51], v[34:35], v[50:51]
	v_mul_f64 v[144:145], v[110:111], s[16:17]
	v_mul_f64 v[124:125], v[102:103], s[8:9]
	;; [unrolled: 1-line block ×6, first 2 shown]
	v_add_f64 v[48:49], v[48:49], v[52:53]
	v_add_f64 v[50:51], v[50:51], v[54:55]
	v_mul_f64 v[52:53], v[161:162], s[16:17]
	v_mul_f64 v[54:55], v[157:158], s[16:17]
	v_add_f64 v[144:145], v[144:145], -v[203:204]
	v_mul_f64 v[203:204], v[120:121], s[4:5]
	v_add_f64 v[124:125], v[205:206], v[124:125]
	v_mul_f64 v[205:206], v[108:109], s[18:19]
	v_add_f64 v[140:141], v[140:141], -v[207:208]
	v_mul_f64 v[207:208], v[102:103], s[22:23]
	v_add_f64 v[136:137], v[136:137], -v[211:212]
	;; [unrolled: 2-line block ×4, first 2 shown]
	v_mul_f64 v[219:220], v[102:103], s[16:17]
	v_add_f64 v[48:49], v[48:49], v[56:57]
	v_add_f64 v[50:51], v[50:51], v[58:59]
	v_mul_f64 v[56:57], v[161:162], s[18:19]
	v_mul_f64 v[58:59], v[157:158], s[18:19]
	v_add_f64 v[52:53], v[229:230], v[52:53]
	v_add_f64 v[54:55], v[54:55], -v[225:226]
	v_mul_f64 v[225:226], v[100:101], s[16:17]
	v_mul_f64 v[229:230], v[100:101], s[6:7]
	v_add_f64 v[48:49], v[48:49], v[60:61]
	v_add_f64 v[50:51], v[50:51], v[62:63]
	v_mul_f64 v[60:61], v[161:162], s[10:11]
	v_mul_f64 v[62:63], v[157:158], s[10:11]
	v_add_f64 v[58:59], v[58:59], -v[197:198]
	v_mul_f64 v[197:198], v[104:105], s[6:7]
	v_add_f64 v[56:57], v[201:202], v[56:57]
	v_mul_f64 v[201:202], v[138:139], s[8:9]
	v_add_f64 v[52:53], v[34:35], v[52:53]
	v_add_f64 v[54:55], v[32:33], v[54:55]
	;; [unrolled: 1-line block ×5, first 2 shown]
	v_mul_f64 v[181:182], v[138:139], s[10:11]
	v_add_f64 v[62:63], v[62:63], -v[175:176]
	v_mul_f64 v[175:176], v[134:135], s[6:7]
	v_mul_f64 v[64:65], v[161:162], s[8:9]
	;; [unrolled: 1-line block ×3, first 2 shown]
	v_add_f64 v[56:57], v[34:35], v[56:57]
	v_add_f64 v[58:59], v[32:33], v[58:59]
	;; [unrolled: 1-line block ×3, first 2 shown]
	v_mul_f64 v[68:69], v[161:162], s[6:7]
	v_add_f64 v[50:51], v[50:51], v[70:71]
	v_mul_f64 v[70:71], v[157:158], s[6:7]
	v_add_f64 v[181:182], v[185:186], v[181:182]
	;; [unrolled: 2-line block ×4, first 2 shown]
	v_mul_f64 v[159:160], v[155:156], s[8:9]
	v_add_f64 v[66:67], v[66:67], -v[153:154]
	v_mul_f64 v[153:154], v[104:105], s[10:11]
	v_add_f64 v[60:61], v[34:35], v[60:61]
	v_add_f64 v[62:63], v[32:33], v[62:63]
	;; [unrolled: 1-line block ×3, first 2 shown]
	v_mul_f64 v[72:73], v[161:162], s[4:5]
	v_add_f64 v[50:51], v[50:51], v[74:75]
	v_mul_f64 v[74:75], v[157:158], s[4:5]
	v_add_f64 v[179:180], v[179:180], v[185:186]
	;; [unrolled: 2-line block ×3, first 2 shown]
	v_add_f64 v[159:160], v[193:194], v[159:160]
	v_mul_f64 v[193:194], v[126:127], s[22:23]
	v_add_f64 v[153:154], v[153:154], -v[199:200]
	v_mul_f64 v[199:200], v[100:101], s[20:21]
	v_add_f64 v[66:67], v[32:33], v[66:67]
	v_add_f64 v[48:49], v[48:49], v[84:85]
	v_mul_f64 v[84:85], v[102:103], s[4:5]
	v_add_f64 v[50:51], v[50:51], v[86:87]
	v_mul_f64 v[86:87], v[151:152], s[10:11]
	;; [unrolled: 2-line block ×3, first 2 shown]
	v_add_f64 v[48:49], v[48:49], v[88:89]
	v_add_f64 v[84:85], v[235:236], v[84:85]
	;; [unrolled: 1-line block ×3, first 2 shown]
	v_add_f64 v[86:87], v[86:87], -v[106:107]
	v_mul_f64 v[106:107], v[155:156], s[18:19]
	v_mul_f64 v[235:236], v[104:105], s[8:9]
	;; [unrolled: 1-line block ×3, first 2 shown]
	v_add_f64 v[169:170], v[169:170], v[185:186]
	v_mul_f64 v[185:186], v[151:152], s[8:9]
	v_mul_f64 v[88:89], v[142:143], s[18:19]
	v_add_f64 v[48:49], v[48:49], v[92:93]
	v_mul_f64 v[92:93], v[126:127], s[16:17]
	v_add_f64 v[50:51], v[50:51], v[94:95]
	;; [unrolled: 2-line block ×3, first 2 shown]
	v_mul_f64 v[227:228], v[102:103], s[10:11]
	v_add_f64 v[90:91], v[90:91], -v[243:244]
	v_mul_f64 v[243:244], v[126:127], s[6:7]
	v_add_f64 v[185:186], v[185:186], -v[187:188]
	v_mul_f64 v[187:188], v[142:143], s[22:23]
	v_add_f64 v[52:53], v[169:170], v[52:53]
	v_add_f64 v[88:89], v[88:89], -v[249:250]
	v_add_f64 v[48:49], v[48:49], v[96:97]
	v_mul_f64 v[96:97], v[104:105], s[20:21]
	v_add_f64 v[50:51], v[50:51], v[98:99]
	v_mul_f64 v[98:99], v[100:101], s[4:5]
	v_add_f64 v[94:95], v[94:95], -v[237:238]
	v_mul_f64 v[237:238], v[110:111], s[18:19]
	v_add_f64 v[92:93], v[92:93], -v[239:240]
	v_mul_f64 v[239:240], v[120:121], s[22:23]
	v_add_f64 v[183:184], v[187:188], -v[183:184]
	v_mul_f64 v[187:188], v[130:131], s[6:7]
	v_add_f64 v[52:53], v[173:174], v[52:53]
	v_add_f64 v[48:49], v[48:49], v[76:77]
	v_add_f64 v[96:97], v[96:97], -v[233:234]
	v_add_f64 v[50:51], v[50:51], v[78:79]
	v_add_f64 v[98:99], v[98:99], -v[231:232]
	v_mul_f64 v[231:232], v[104:105], s[22:23]
	v_mul_f64 v[233:234], v[108:109], s[16:17]
	;; [unrolled: 1-line block ×4, first 2 shown]
	v_add_f64 v[177:178], v[187:188], -v[177:178]
	v_mul_f64 v[187:188], v[126:127], s[10:11]
	v_add_f64 v[52:53], v[179:180], v[52:53]
	v_add_f64 v[44:45], v[48:49], v[44:45]
	v_mul_f64 v[48:49], v[161:162], s[20:21]
	v_add_f64 v[46:47], v[50:51], v[46:47]
	v_mul_f64 v[50:51], v[157:158], s[20:21]
	v_add_f64 v[78:79], v[241:242], v[78:79]
	v_mul_f64 v[241:242], v[110:111], s[10:11]
	v_add_f64 v[76:77], v[245:246], v[76:77]
	v_add_f64 v[171:172], v[187:188], -v[171:172]
	v_mul_f64 v[187:188], v[110:111], s[20:21]
	v_add_f64 v[52:53], v[181:182], v[52:53]
	v_add_f64 v[40:41], v[44:45], v[40:41]
	v_mul_f64 v[44:45], v[161:162], s[22:23]
	v_mul_f64 v[161:162], v[146:147], s[22:23]
	v_add_f64 v[42:43], v[46:47], v[42:43]
	v_mul_f64 v[46:47], v[157:158], s[22:23]
	v_mul_f64 v[157:158], v[100:101], s[8:9]
	v_add_f64 v[48:49], v[253:254], v[48:49]
	v_add_f64 v[50:51], v[50:51], -v[247:248]
	v_add_f64 v[167:168], v[187:188], -v[167:168]
	v_mul_f64 v[187:188], v[104:105], s[4:5]
	v_add_f64 v[52:53], v[175:176], v[52:53]
	v_add_f64 v[44:45], v[122:123], v[44:45]
	;; [unrolled: 1-line block ×3, first 2 shown]
	v_mul_f64 v[191:192], v[102:103], s[20:21]
	v_mul_f64 v[122:123], v[108:109], s[10:11]
	v_add_f64 v[157:158], v[157:158], -v[195:196]
	v_mul_f64 v[195:196], v[110:111], s[8:9]
	v_add_f64 v[46:47], v[46:47], -v[118:119]
	v_mul_f64 v[118:119], v[120:121], s[16:17]
	v_add_f64 v[38:39], v[42:43], v[38:39]
	v_add_f64 v[42:43], v[40:41], v[36:37]
	s_waitcnt vmcnt(0)
	v_add_f64 v[68:69], v[0:1], v[68:69]
	s_clause 0x1
	buffer_load_dword v0, off, s[60:63], 0 offset:560
	buffer_load_dword v1, off, s[60:63], 0 offset:564
	v_add_f64 v[165:166], v[187:188], -v[165:166]
	v_mul_f64 v[187:188], v[100:101], s[18:19]
	v_mul_f64 v[36:37], v[155:156], s[10:11]
	v_mul_f64 v[40:41], v[146:147], s[18:19]
	v_add_f64 v[48:49], v[34:35], v[48:49]
	v_mul_f64 v[102:103], v[102:103], s[6:7]
	v_mul_f64 v[100:101], v[100:101], s[10:11]
	;; [unrolled: 1-line block ×3, first 2 shown]
	v_add_f64 v[50:51], v[32:33], v[50:51]
	v_add_f64 v[44:45], v[34:35], v[44:45]
	;; [unrolled: 1-line block ×3, first 2 shown]
	v_mul_f64 v[209:210], v[126:127], s[8:9]
	v_add_f64 v[46:47], v[32:33], v[46:47]
	v_add_f64 v[118:119], v[213:214], v[118:119]
	v_mul_f64 v[213:214], v[104:105], s[18:19]
	v_mul_f64 v[104:105], v[104:105], s[16:17]
	v_add_f64 v[68:69], v[34:35], v[68:69]
	v_add_f64 v[163:164], v[187:188], -v[163:164]
	v_mul_f64 v[187:188], v[138:139], s[22:23]
	v_add_f64 v[36:37], v[116:117], v[36:37]
	v_mul_f64 v[116:117], v[138:139], s[4:5]
	v_add_f64 v[40:41], v[114:115], v[40:41]
	;; [unrolled: 2-line block ×3, first 2 shown]
	v_add_f64 v[50:51], v[157:158], v[50:51]
	v_add_f64 v[44:45], v[84:85], v[44:45]
	v_mul_f64 v[84:85], v[138:139], s[20:21]
	v_add_f64 v[46:47], v[98:99], v[46:47]
	v_mul_f64 v[98:99], v[134:135], s[18:19]
	v_add_f64 v[54:55], v[163:164], v[54:55]
	v_add_f64 v[148:149], v[148:149], v[187:188]
	v_mul_f64 v[187:188], v[120:121], s[8:9]
	v_add_f64 v[116:117], v[217:218], v[116:117]
	v_mul_f64 v[217:218], v[138:139], s[6:7]
	v_add_f64 v[114:115], v[221:222], v[114:115]
	v_mul_f64 v[221:222], v[108:109], s[22:23]
	v_mul_f64 v[108:109], v[108:109], s[8:9]
	v_add_f64 v[48:49], v[122:123], v[48:49]
	v_add_f64 v[44:45], v[78:79], v[44:45]
	v_mul_f64 v[78:79], v[126:127], s[20:21]
	v_add_f64 v[50:51], v[153:154], v[50:51]
	v_add_f64 v[46:47], v[96:97], v[46:47]
	;; [unrolled: 3-line block ×3, first 2 shown]
	v_add_f64 v[44:45], v[76:77], v[44:45]
	v_mul_f64 v[76:77], v[138:139], s[18:19]
	v_add_f64 v[50:51], v[144:145], v[50:51]
	v_add_f64 v[46:47], v[94:95], v[46:47]
	v_mul_f64 v[94:95], v[134:135], s[4:5]
	v_add_f64 v[54:55], v[167:168], v[54:55]
	v_add_f64 v[48:49], v[116:117], v[48:49]
	v_add_f64 v[50:51], v[140:141], v[50:51]
	v_add_f64 v[46:47], v[92:93], v[46:47]
	v_mul_f64 v[92:93], v[130:131], s[20:21]
	v_add_f64 v[54:55], v[171:172], v[54:55]
	v_add_f64 v[48:49], v[114:115], v[48:49]
	;; [unrolled: 5-line block ×3, first 2 shown]
	s_waitcnt vmcnt(0)
	v_add_f64 v[70:71], v[70:71], -v[0:1]
	s_clause 0x1
	buffer_load_dword v0, off, s[60:63], 0 offset:176
	buffer_load_dword v1, off, s[60:63], 0 offset:180
	v_add_f64 v[70:71], v[32:33], v[70:71]
	s_waitcnt vmcnt(0)
	v_add_f64 v[72:73], v[0:1], v[72:73]
	s_clause 0x1
	buffer_load_dword v0, off, s[60:63], 0 offset:168
	buffer_load_dword v1, off, s[60:63], 0 offset:172
	v_add_f64 v[34:35], v[34:35], v[72:73]
	v_mul_f64 v[72:73], v[134:135], s[8:9]
	v_add_f64 v[72:73], v[112:113], v[72:73]
	v_mul_f64 v[112:113], v[146:147], s[6:7]
	;; [unrolled: 2-line block ×3, first 2 shown]
	v_mul_f64 v[120:121], v[120:121], s[10:11]
	s_waitcnt vmcnt(0)
	v_add_f64 v[74:75], v[74:75], -v[0:1]
	s_clause 0x1
	buffer_load_dword v0, off, s[60:63], 0 offset:624
	buffer_load_dword v1, off, s[60:63], 0 offset:628
	v_add_f64 v[32:33], v[32:33], v[74:75]
	v_mul_f64 v[74:75], v[138:139], s[16:17]
	v_add_f64 v[74:75], v[251:252], v[74:75]
	v_add_f64 v[44:45], v[74:75], v[44:45]
	v_mul_f64 v[74:75], v[126:127], s[18:19]
	v_add_f64 v[44:45], v[72:73], v[44:45]
	v_mul_f64 v[72:73], v[134:135], s[10:11]
	v_add_f64 v[40:41], v[40:41], v[44:45]
	v_add_f64 v[44:45], v[112:113], v[48:49]
	;; [unrolled: 1-line block ×3, first 2 shown]
	v_mul_f64 v[52:53], v[130:131], s[10:11]
	s_waitcnt vmcnt(0)
	v_add_f64 v[187:188], v[0:1], v[187:188]
	s_clause 0x1
	buffer_load_dword v0, off, s[60:63], 0 offset:608
	buffer_load_dword v1, off, s[60:63], 0 offset:612
	s_waitcnt vmcnt(0)
	v_add_f64 v[189:190], v[0:1], v[189:190]
	s_clause 0x1
	buffer_load_dword v0, off, s[60:63], 0 offset:592
	buffer_load_dword v1, off, s[60:63], 0 offset:596
	;; [unrolled: 5-line block ×3, first 2 shown]
	v_add_f64 v[56:57], v[191:192], v[56:57]
	v_add_f64 v[56:57], v[189:190], v[56:57]
	;; [unrolled: 1-line block ×4, first 2 shown]
	s_waitcnt vmcnt(0)
	v_add_f64 v[193:194], v[193:194], -v[0:1]
	s_clause 0x1
	buffer_load_dword v0, off, s[60:63], 0 offset:600
	buffer_load_dword v1, off, s[60:63], 0 offset:604
	s_waitcnt vmcnt(0)
	v_add_f64 v[195:196], v[195:196], -v[0:1]
	s_clause 0x1
	buffer_load_dword v0, off, s[60:63], 0 offset:584
	buffer_load_dword v1, off, s[60:63], 0 offset:588
	;; [unrolled: 5-line block ×4, first 2 shown]
	v_add_f64 v[58:59], v[199:200], v[58:59]
	v_add_f64 v[58:59], v[197:198], v[58:59]
	v_add_f64 v[58:59], v[195:196], v[58:59]
	v_add_f64 v[58:59], v[193:194], v[58:59]
	s_waitcnt vmcnt(0)
	v_add_f64 v[201:202], v[0:1], v[201:202]
	s_clause 0x1
	buffer_load_dword v0, off, s[60:63], 0 offset:544
	buffer_load_dword v1, off, s[60:63], 0 offset:548
	s_waitcnt vmcnt(0)
	v_add_f64 v[203:204], v[0:1], v[203:204]
	s_clause 0x1
	buffer_load_dword v0, off, s[60:63], 0 offset:528
	buffer_load_dword v1, off, s[60:63], 0 offset:532
	;; [unrolled: 5-line block ×4, first 2 shown]
	v_add_f64 v[60:61], v[207:208], v[60:61]
	v_add_f64 v[60:61], v[205:206], v[60:61]
	;; [unrolled: 1-line block ×4, first 2 shown]
	s_waitcnt vmcnt(0)
	v_add_f64 v[209:210], v[209:210], -v[0:1]
	s_clause 0x1
	buffer_load_dword v0, off, s[60:63], 0 offset:520
	buffer_load_dword v1, off, s[60:63], 0 offset:524
	s_waitcnt vmcnt(0)
	v_add_f64 v[211:212], v[211:212], -v[0:1]
	s_clause 0x1
	buffer_load_dword v0, off, s[60:63], 0 offset:504
	buffer_load_dword v1, off, s[60:63], 0 offset:508
	;; [unrolled: 5-line block ×4, first 2 shown]
	v_add_f64 v[62:63], v[215:216], v[62:63]
	v_add_f64 v[62:63], v[213:214], v[62:63]
	;; [unrolled: 1-line block ×4, first 2 shown]
	s_waitcnt vmcnt(0)
	v_add_f64 v[217:218], v[0:1], v[217:218]
	s_clause 0x1
	buffer_load_dword v0, off, s[60:63], 0 offset:448
	buffer_load_dword v1, off, s[60:63], 0 offset:452
	s_waitcnt vmcnt(0)
	v_add_f64 v[219:220], v[0:1], v[219:220]
	s_clause 0x1
	buffer_load_dword v0, off, s[60:63], 0 offset:456
	buffer_load_dword v1, off, s[60:63], 0 offset:460
	v_add_f64 v[64:65], v[219:220], v[64:65]
	s_waitcnt vmcnt(0)
	v_add_f64 v[221:222], v[0:1], v[221:222]
	s_clause 0x1
	buffer_load_dword v0, off, s[60:63], 0 offset:464
	buffer_load_dword v1, off, s[60:63], 0 offset:468
	v_add_f64 v[64:65], v[221:222], v[64:65]
	;; [unrolled: 6-line block ×3, first 2 shown]
	v_add_f64 v[64:65], v[217:218], v[64:65]
	s_waitcnt vmcnt(0)
	v_add_f64 v[225:226], v[225:226], -v[0:1]
	s_clause 0x1
	buffer_load_dword v0, off, s[60:63], 0 offset:344
	buffer_load_dword v1, off, s[60:63], 0 offset:348
	v_add_f64 v[66:67], v[225:226], v[66:67]
	s_waitcnt vmcnt(0)
	v_add_f64 v[227:228], v[0:1], v[227:228]
	s_clause 0x1
	buffer_load_dword v0, off, s[60:63], 0 offset:40
	buffer_load_dword v1, off, s[60:63], 0 offset:44
	v_add_f64 v[68:69], v[227:228], v[68:69]
	s_waitcnt vmcnt(0)
	v_add_f64 v[102:103], v[0:1], v[102:103]
	s_clause 0x1
	buffer_load_dword v0, off, s[60:63], 0 offset:32
	buffer_load_dword v1, off, s[60:63], 0 offset:36
	v_add_f64 v[34:35], v[102:103], v[34:35]
	v_mul_f64 v[102:103], v[146:147], s[10:11]
	s_waitcnt vmcnt(0)
	v_add_f64 v[229:230], v[229:230], -v[0:1]
	s_clause 0x1
	buffer_load_dword v0, off, s[60:63], 0 offset:424
	buffer_load_dword v1, off, s[60:63], 0 offset:428
	v_add_f64 v[32:33], v[229:230], v[32:33]
	s_waitcnt vmcnt(0)
	v_add_f64 v[231:232], v[231:232], -v[0:1]
	s_clause 0x1
	buffer_load_dword v0, off, s[60:63], 0 offset:304
	buffer_load_dword v1, off, s[60:63], 0 offset:308
	v_add_f64 v[66:67], v[231:232], v[66:67]
	;; [unrolled: 6-line block ×3, first 2 shown]
	v_mul_f64 v[100:101], v[134:135], s[16:17]
	s_waitcnt vmcnt(0)
	v_add_f64 v[233:234], v[0:1], v[233:234]
	s_clause 0x1
	buffer_load_dword v0, off, s[60:63], 0 offset:88
	buffer_load_dword v1, off, s[60:63], 0 offset:92
	v_add_f64 v[68:69], v[233:234], v[68:69]
	s_waitcnt vmcnt(0)
	v_add_f64 v[108:109], v[0:1], v[108:109]
	s_clause 0x1
	buffer_load_dword v0, off, s[60:63], 0 offset:72
	buffer_load_dword v1, off, s[60:63], 0 offset:76
	v_add_f64 v[34:35], v[108:109], v[34:35]
	v_mul_f64 v[108:109], v[146:147], s[20:21]
	s_waitcnt vmcnt(0)
	v_add_f64 v[235:236], v[235:236], -v[0:1]
	s_clause 0x1
	buffer_load_dword v0, off, s[60:63], 0 offset:312
	buffer_load_dword v1, off, s[60:63], 0 offset:316
	v_add_f64 v[32:33], v[235:236], v[32:33]
	s_waitcnt vmcnt(0)
	v_add_f64 v[104:105], v[104:105], -v[0:1]
	s_clause 0x1
	buffer_load_dword v0, off, s[60:63], 0 offset:408
	buffer_load_dword v1, off, s[60:63], 0 offset:412
	v_add_f64 v[70:71], v[104:105], v[70:71]
	v_mul_f64 v[104:105], v[146:147], s[8:9]
	s_waitcnt vmcnt(0)
	v_add_f64 v[237:238], v[237:238], -v[0:1]
	s_clause 0x1
	buffer_load_dword v0, off, s[60:63], 0 offset:328
	buffer_load_dword v1, off, s[60:63], 0 offset:332
	v_add_f64 v[66:67], v[237:238], v[66:67]
	s_waitcnt vmcnt(0)
	v_add_f64 v[239:240], v[0:1], v[239:240]
	s_clause 0x1
	buffer_load_dword v0, off, s[60:63], 0 offset:96
	buffer_load_dword v1, off, s[60:63], 0 offset:100
	v_add_f64 v[68:69], v[239:240], v[68:69]
	s_waitcnt vmcnt(0)
	v_add_f64 v[120:121], v[0:1], v[120:121]
	s_clause 0x1
	buffer_load_dword v0, off, s[60:63], 0 offset:56
	buffer_load_dword v1, off, s[60:63], 0 offset:60
	v_add_f64 v[34:35], v[120:121], v[34:35]
	s_waitcnt vmcnt(0)
	v_add_f64 v[241:242], v[241:242], -v[0:1]
	s_clause 0x1
	buffer_load_dword v0, off, s[60:63], 0 offset:288
	buffer_load_dword v1, off, s[60:63], 0 offset:292
	v_add_f64 v[32:33], v[241:242], v[32:33]
	s_waitcnt vmcnt(0)
	v_add_f64 v[110:111], v[110:111], -v[0:1]
	;; [unrolled: 6-line block ×3, first 2 shown]
	s_clause 0x1
	buffer_load_dword v0, off, s[60:63], 0 offset:320
	buffer_load_dword v1, off, s[60:63], 0 offset:324
	v_add_f64 v[66:67], v[243:244], v[66:67]
	s_waitcnt vmcnt(0)
	v_add_f64 v[84:85], v[0:1], v[84:85]
	s_clause 0x1
	buffer_load_dword v0, off, s[60:63], 0 offset:272
	buffer_load_dword v1, off, s[60:63], 0 offset:276
	v_add_f64 v[68:69], v[84:85], v[68:69]
	v_mul_f64 v[84:85], v[130:131], s[18:19]
	s_waitcnt vmcnt(0)
	v_add_f64 v[78:79], v[78:79], -v[0:1]
	s_clause 0x1
	buffer_load_dword v0, off, s[60:63], 0 offset:128
	buffer_load_dword v1, off, s[60:63], 0 offset:132
	v_add_f64 v[70:71], v[78:79], v[70:71]
	v_mul_f64 v[78:79], v[146:147], s[16:17]
	s_waitcnt vmcnt(0)
	v_add_f64 v[76:77], v[0:1], v[76:77]
	s_clause 0x1
	buffer_load_dword v0, off, s[60:63], 0 offset:104
	buffer_load_dword v1, off, s[60:63], 0 offset:108
	v_add_f64 v[34:35], v[76:77], v[34:35]
	v_mul_f64 v[76:77], v[130:131], s[16:17]
	s_waitcnt vmcnt(0)
	v_add_f64 v[74:75], v[74:75], -v[0:1]
	s_clause 0x1
	buffer_load_dword v0, off, s[60:63], 0 offset:488
	buffer_load_dword v1, off, s[60:63], 0 offset:492
	v_add_f64 v[32:33], v[74:75], v[32:33]
	v_mul_f64 v[74:75], v[146:147], s[4:5]
	;; [unrolled: 14-line block ×7, first 2 shown]
	s_waitcnt vmcnt(0)
	v_add_f64 v[74:75], v[0:1], v[74:75]
	s_clause 0x1
	buffer_load_dword v0, off, s[60:63], 0 offset:432
	buffer_load_dword v1, off, s[60:63], 0 offset:436
	v_add_f64 v[56:57], v[74:75], v[56:57]
	v_mul_f64 v[74:75], v[151:152], s[16:17]
	s_waitcnt vmcnt(0)
	v_add_f64 v[72:73], v[72:73], -v[0:1]
	s_clause 0x1
	buffer_load_dword v0, off, s[60:63], 0 offset:360
	buffer_load_dword v1, off, s[60:63], 0 offset:364
	v_add_f64 v[72:73], v[72:73], v[52:53]
	s_waitcnt vmcnt(0)
	v_add_f64 v[78:79], v[0:1], v[78:79]
	s_clause 0x1
	buffer_load_dword v0, off, s[60:63], 0 offset:352
	buffer_load_dword v1, off, s[60:63], 0 offset:356
	v_add_f64 v[60:61], v[78:79], v[60:61]
	v_mul_f64 v[78:79], v[151:152], s[6:7]
	s_waitcnt vmcnt(0)
	v_add_f64 v[90:91], v[90:91], -v[0:1]
	s_clause 0x1
	buffer_load_dword v0, off, s[60:63], 0 offset:248
	buffer_load_dword v1, off, s[60:63], 0 offset:252
	v_add_f64 v[90:91], v[90:91], v[62:63]
	v_add_f64 v[62:63], v[42:43], v[28:29]
	s_waitcnt vmcnt(0)
	v_add_f64 v[102:103], v[0:1], v[102:103]
	s_clause 0x1
	buffer_load_dword v0, off, s[60:63], 0 offset:240
	buffer_load_dword v1, off, s[60:63], 0 offset:244
	v_add_f64 v[64:65], v[102:103], v[64:65]
	v_mul_f64 v[102:103], v[151:152], s[4:5]
	v_add_f64 v[102:103], v[102:103], -v[2:3]
	s_waitcnt vmcnt(0)
	v_add_f64 v[94:95], v[94:95], -v[0:1]
	s_clause 0x1
	buffer_load_dword v0, off, s[60:63], 0 offset:200
	buffer_load_dword v1, off, s[60:63], 0 offset:204
	v_add_f64 v[66:67], v[94:95], v[66:67]
	v_add_f64 v[94:95], v[183:184], v[54:55]
	s_waitcnt vmcnt(0)
	v_add_f64 v[104:105], v[0:1], v[104:105]
	s_clause 0x1
	buffer_load_dword v0, off, s[60:63], 0 offset:192
	buffer_load_dword v1, off, s[60:63], 0 offset:196
	v_add_f64 v[68:69], v[104:105], v[68:69]
	v_mul_f64 v[104:105], v[155:156], s[22:23]
	s_waitcnt vmcnt(0)
	v_add_f64 v[98:99], v[98:99], -v[0:1]
	s_clause 0x1
	buffer_load_dword v0, off, s[60:63], 0 offset:144
	buffer_load_dword v1, off, s[60:63], 0 offset:148
	v_add_f64 v[70:71], v[98:99], v[70:71]
	v_add_f64 v[98:99], v[132:133], v[50:51]
	;; [unrolled: 1-line block ×3, first 2 shown]
	s_waitcnt vmcnt(0)
	v_add_f64 v[108:109], v[0:1], v[108:109]
	s_clause 0x1
	buffer_load_dword v0, off, s[60:63], 0 offset:136
	buffer_load_dword v1, off, s[60:63], 0 offset:140
	v_add_f64 v[34:35], v[108:109], v[34:35]
	v_mul_f64 v[108:109], v[151:152], s[22:23]
	s_waitcnt vmcnt(0)
	v_add_f64 v[100:101], v[100:101], -v[0:1]
	s_clause 0x1
	buffer_load_dword v0, off, s[60:63], 0 offset:392
	buffer_load_dword v1, off, s[60:63], 0 offset:396
	v_add_f64 v[100:101], v[100:101], v[32:33]
	v_add_f64 v[32:33], v[36:37], v[40:41]
	;; [unrolled: 1-line block ×4, first 2 shown]
	s_waitcnt vmcnt(0)
	v_add_f64 v[58:59], v[0:1], v[58:59]
	s_clause 0x1
	buffer_load_dword v0, off, s[60:63], 0 offset:384
	buffer_load_dword v1, off, s[60:63], 0 offset:388
	v_add_f64 v[44:45], v[58:59], v[56:57]
	s_waitcnt vmcnt(0)
	v_add_f64 v[74:75], v[74:75], -v[0:1]
	s_clause 0x1
	buffer_load_dword v0, off, s[60:63], 0 offset:296
	buffer_load_dword v1, off, s[60:63], 0 offset:300
	v_add_f64 v[42:43], v[74:75], v[72:73]
	s_waitcnt vmcnt(0)
	v_add_f64 v[76:77], v[0:1], v[76:77]
	s_clause 0x1
	buffer_load_dword v0, off, s[60:63], 0 offset:280
	buffer_load_dword v1, off, s[60:63], 0 offset:284
	v_add_f64 v[48:49], v[76:77], v[60:61]
	s_waitcnt vmcnt(0)
	v_add_f64 v[78:79], v[78:79], -v[0:1]
	s_clause 0x1
	buffer_load_dword v0, off, s[60:63], 0 offset:232
	buffer_load_dword v1, off, s[60:63], 0 offset:236
	v_add_f64 v[46:47], v[78:79], v[90:91]
	s_waitcnt vmcnt(0)
	v_add_f64 v[84:85], v[0:1], v[84:85]
	s_clause 0x1
	buffer_load_dword v0, off, s[60:63], 0 offset:224
	buffer_load_dword v1, off, s[60:63], 0 offset:228
	v_add_f64 v[52:53], v[84:85], v[64:65]
	v_add_f64 v[64:65], v[38:39], v[30:31]
	;; [unrolled: 1-line block ×4, first 2 shown]
	s_waitcnt vmcnt(0)
	v_add_f64 v[92:93], v[92:93], -v[0:1]
	s_clause 0x1
	buffer_load_dword v0, off, s[60:63], 0 offset:184
	buffer_load_dword v1, off, s[60:63], 0 offset:188
	v_add_f64 v[50:51], v[92:93], v[66:67]
	s_waitcnt vmcnt(0)
	v_add_f64 v[96:97], v[0:1], v[96:97]
	s_clause 0x1
	buffer_load_dword v0, off, s[60:63], 0 offset:160
	buffer_load_dword v1, off, s[60:63], 0 offset:164
	v_add_f64 v[56:57], v[96:97], v[68:69]
	s_waitcnt vmcnt(0)
	v_add_f64 v[104:105], v[0:1], v[104:105]
	s_clause 0x1
	buffer_load_dword v0, off, s[60:63], 0 offset:152
	buffer_load_dword v1, off, s[60:63], 0 offset:156
	v_add_f64 v[60:61], v[104:105], v[34:35]
	v_add_f64 v[34:35], v[128:129], v[98:99]
	s_waitcnt vmcnt(0)
	v_add_f64 v[108:109], v[108:109], -v[0:1]
	buffer_load_dword v1, off, s[60:63], 0 offset:28 ; 4-byte Folded Reload
	v_mov_b32_e32 v0, 4
	v_add_f64 v[58:59], v[108:109], v[100:101]
	s_waitcnt vmcnt(0)
	v_lshlrev_b32_sdwa v0, v0, v1 dst_sel:DWORD dst_unused:UNUSED_PAD src0_sel:DWORD src1_sel:WORD_0
	ds_write_b128 v0, v[62:65]
	ds_write_b128 v0, v[58:61] offset:16
	ds_write_b128 v0, v[54:57] offset:32
	;; [unrolled: 1-line block ×15, first 2 shown]
	s_clause 0x3
	buffer_load_dword v28, off, s[60:63], 0 offset:12
	buffer_load_dword v29, off, s[60:63], 0 offset:16
	;; [unrolled: 1-line block ×4, first 2 shown]
	s_waitcnt vmcnt(0)
	ds_write_b128 v0, v[28:31] offset:256
.LBB0_7:
	s_or_b32 exec_lo, exec_lo, s24
	buffer_load_dword v3, off, s[60:63], 0  ; 4-byte Folded Reload
	s_load_dwordx4 s[4:7], s[0:1], 0x0
	s_waitcnt vmcnt(0) lgkmcnt(0)
	s_waitcnt_vscnt null, 0x0
	s_barrier
	buffer_gl0_inv
	s_mov_b32 s8, 0x8c811c17
	s_mov_b32 s10, 0xa2cf5039
	;; [unrolled: 1-line block ×8, first 2 shown]
	v_and_b32_e32 v0, 0xff, v3
	v_mul_lo_u16 v0, 0xf1, v0
	v_lshrrev_b16 v0, 12, v0
	v_mul_lo_u16 v1, v0, 17
	v_sub_nc_u16 v1, v3, v1
	v_and_b32_e32 v1, 0xff, v1
	v_lshlrev_b32_e32 v2, 7, v1
	s_clause 0x7
	global_load_dwordx4 v[36:39], v2, s[2:3]
	global_load_dwordx4 v[44:47], v2, s[2:3] offset:112
	global_load_dwordx4 v[40:43], v2, s[2:3] offset:48
	;; [unrolled: 1-line block ×7, first 2 shown]
	ds_read_b128 v[60:63], v255 offset:1632
	ds_read_b128 v[64:67], v255 offset:13056
	;; [unrolled: 1-line block ×8, first 2 shown]
	v_mov_b32_e32 v2, 0x99
	v_mul_u32_u24_sdwa v0, v0, v2 dst_sel:DWORD dst_unused:UNUSED_PAD src0_sel:WORD_0 src1_sel:DWORD
	v_add_lshl_u32 v148, v0, v1, 4
	s_waitcnt vmcnt(7) lgkmcnt(7)
	v_mul_f64 v[96:97], v[62:63], v[38:39]
	v_mul_f64 v[98:99], v[60:61], v[38:39]
	s_waitcnt vmcnt(6) lgkmcnt(6)
	v_mul_f64 v[100:101], v[66:67], v[46:47]
	s_waitcnt vmcnt(5) lgkmcnt(5)
	v_mul_f64 v[104:105], v[70:71], v[42:43]
	v_mul_f64 v[102:103], v[64:65], v[46:47]
	;; [unrolled: 1-line block ×3, first 2 shown]
	s_waitcnt vmcnt(4) lgkmcnt(4)
	v_mul_f64 v[108:109], v[74:75], v[58:59]
	v_mul_f64 v[110:111], v[72:73], v[58:59]
	s_waitcnt vmcnt(3) lgkmcnt(3)
	v_mul_f64 v[112:113], v[78:79], v[54:55]
	v_mul_f64 v[114:115], v[76:77], v[54:55]
	;; [unrolled: 3-line block ×3, first 2 shown]
	v_fma_f64 v[96:97], v[60:61], v[36:37], -v[96:97]
	v_fma_f64 v[98:99], v[62:63], v[36:37], v[98:99]
	ds_read_b128 v[60:63], v255
	v_fma_f64 v[64:65], v[64:65], v[44:45], -v[100:101]
	v_fma_f64 v[68:69], v[68:69], v[40:41], -v[104:105]
	s_waitcnt vmcnt(1) lgkmcnt(2)
	v_mul_f64 v[100:101], v[90:91], v[34:35]
	s_waitcnt vmcnt(0) lgkmcnt(1)
	v_mul_f64 v[104:105], v[94:95], v[30:31]
	v_fma_f64 v[66:67], v[66:67], v[44:45], v[102:103]
	v_fma_f64 v[70:71], v[70:71], v[40:41], v[106:107]
	v_mul_f64 v[102:103], v[88:89], v[34:35]
	v_mul_f64 v[106:107], v[92:93], v[30:31]
	v_fma_f64 v[72:73], v[72:73], v[56:57], -v[108:109]
	v_fma_f64 v[74:75], v[74:75], v[56:57], v[110:111]
	v_fma_f64 v[76:77], v[76:77], v[52:53], -v[112:113]
	v_fma_f64 v[78:79], v[78:79], v[52:53], v[114:115]
	v_fma_f64 v[84:85], v[84:85], v[48:49], -v[116:117]
	v_fma_f64 v[86:87], v[86:87], v[48:49], v[118:119]
	v_add_f64 v[108:109], v[96:97], -v[64:65]
	v_add_f64 v[64:65], v[96:97], v[64:65]
	v_fma_f64 v[88:89], v[88:89], v[32:33], -v[100:101]
	buffer_store_dword v32, off, s[60:63], 0 offset:56 ; 4-byte Folded Spill
	buffer_store_dword v33, off, s[60:63], 0 offset:60 ; 4-byte Folded Spill
	;; [unrolled: 1-line block ×4, first 2 shown]
	v_fma_f64 v[92:93], v[92:93], v[28:29], -v[104:105]
	buffer_store_dword v28, off, s[60:63], 0 offset:40 ; 4-byte Folded Spill
	buffer_store_dword v29, off, s[60:63], 0 offset:44 ; 4-byte Folded Spill
	;; [unrolled: 1-line block ×4, first 2 shown]
	v_add_f64 v[110:111], v[98:99], -v[66:67]
	v_add_f64 v[66:67], v[98:99], v[66:67]
	v_add_f64 v[96:97], v[68:69], v[72:73]
	;; [unrolled: 1-line block ×3, first 2 shown]
	v_add_f64 v[112:113], v[68:69], -v[72:73]
	v_add_f64 v[114:115], v[70:71], -v[74:75]
	v_add_f64 v[116:117], v[76:77], v[84:85]
	v_add_f64 v[118:119], v[78:79], v[86:87]
	v_add_f64 v[76:77], v[76:77], -v[84:85]
	v_add_f64 v[78:79], v[78:79], -v[86:87]
	s_waitcnt lgkmcnt(0)
	s_waitcnt_vscnt null, 0x0
	s_barrier
	buffer_gl0_inv
	v_mul_f64 v[84:85], v[108:109], s[0:1]
	v_fma_f64 v[100:101], v[64:65], s[10:11], v[60:61]
	v_add_f64 v[132:133], v[88:89], v[92:93]
	v_add_f64 v[88:89], v[88:89], -v[92:93]
	v_mul_f64 v[86:87], v[110:111], s[0:1]
	s_mov_b32 s1, 0xbfe491b7
	v_fma_f64 v[104:105], v[96:97], s[10:11], v[60:61]
	v_mul_f64 v[120:121], v[112:113], s[8:9]
	v_mul_f64 v[122:123], v[114:115], s[8:9]
	v_fma_f64 v[124:125], v[116:117], s[10:11], v[60:61]
	v_fma_f64 v[126:127], v[118:119], s[10:11], v[62:63]
	v_mul_f64 v[128:129], v[114:115], s[0:1]
	v_mul_f64 v[130:131], v[112:113], s[0:1]
	v_add_f64 v[136:137], v[116:117], v[64:65]
	v_add_f64 v[138:139], v[118:119], v[66:67]
	v_fma_f64 v[84:85], v[76:77], s[8:9], v[84:85]
	v_fma_f64 v[92:93], v[116:117], s[16:17], v[100:101]
	v_add_f64 v[140:141], v[60:61], v[132:133]
	v_fma_f64 v[86:87], v[78:79], s[8:9], v[86:87]
	v_fma_f64 v[100:101], v[64:65], s[16:17], v[104:105]
	v_fma_f64 v[104:105], v[76:77], s[0:1], -v[120:121]
	v_fma_f64 v[120:121], v[96:97], s[16:17], v[124:125]
	v_fma_f64 v[124:125], v[110:111], s[8:9], v[128:129]
	v_add_f64 v[128:129], v[112:113], v[108:109]
	v_add_f64 v[144:145], v[96:97], v[136:137]
	v_add_f64 v[146:147], v[98:99], v[138:139]
	v_add_f64 v[136:137], v[132:133], v[136:137]
	v_fma_f64 v[92:93], v[132:133], -0.5, v[92:93]
	v_fma_f64 v[100:101], v[132:133], -0.5, v[100:101]
	;; [unrolled: 1-line block ×3, first 2 shown]
	v_add_f64 v[68:69], v[68:69], v[136:137]
	v_fma_f64 v[90:91], v[90:91], v[32:33], v[102:103]
	v_fma_f64 v[102:103], v[66:67], s[10:11], v[62:63]
	;; [unrolled: 1-line block ×4, first 2 shown]
	s_mov_b32 s10, 0xe8584cab
	s_mov_b32 s11, 0x3febb67a
	v_fma_f64 v[84:85], v[88:89], s[10:11], v[84:85]
	v_fma_f64 v[104:105], v[88:89], s[10:11], v[104:105]
	v_add_f64 v[134:135], v[90:91], v[94:95]
	v_add_f64 v[90:91], v[90:91], -v[94:95]
	v_fma_f64 v[94:95], v[118:119], s[16:17], v[102:103]
	v_fma_f64 v[102:103], v[66:67], s[16:17], v[106:107]
	v_fma_f64 v[106:107], v[78:79], s[0:1], -v[122:123]
	v_fma_f64 v[122:123], v[98:99], s[16:17], v[126:127]
	v_fma_f64 v[126:127], v[108:109], s[8:9], v[130:131]
	v_add_f64 v[130:131], v[114:115], v[110:111]
	s_mov_b32 s1, 0xbfebb67a
	s_mov_b32 s0, s10
	;; [unrolled: 1-line block ×6, first 2 shown]
	v_fma_f64 v[112:113], v[112:113], s[8:9], v[84:85]
	v_add_f64 v[138:139], v[134:135], v[138:139]
	v_add_f64 v[142:143], v[62:63], v[134:135]
	v_fma_f64 v[86:87], v[90:91], s[10:11], v[86:87]
	v_fma_f64 v[94:95], v[134:135], -0.5, v[94:95]
	v_fma_f64 v[102:103], v[134:135], -0.5, v[102:103]
	v_fma_f64 v[106:107], v[90:91], s[10:11], v[106:107]
	v_fma_f64 v[122:123], v[134:135], -0.5, v[122:123]
	v_fma_f64 v[90:91], v[90:91], s[0:1], v[124:125]
	v_fma_f64 v[88:89], v[88:89], s[0:1], v[126:127]
	v_add_f64 v[124:125], v[128:129], -v[76:77]
	v_add_f64 v[126:127], v[130:131], -v[78:79]
	v_fma_f64 v[128:129], v[144:145], -0.5, v[140:141]
	v_add_f64 v[70:71], v[70:71], v[138:139]
	v_fma_f64 v[130:131], v[146:147], -0.5, v[142:143]
	v_fma_f64 v[84:85], v[114:115], s[8:9], v[86:87]
	v_fma_f64 v[86:87], v[96:97], s[16:17], v[92:93]
	;; [unrolled: 1-line block ×11, first 2 shown]
	v_add_f64 v[110:111], v[72:73], v[68:69]
	v_mul_f64 v[90:91], v[124:125], s[10:11]
	v_mul_f64 v[88:89], v[126:127], s[10:11]
	v_fma_f64 v[64:65], v[126:127], s[10:11], v[128:129]
	v_add_f64 v[114:115], v[74:75], v[70:71]
	v_fma_f64 v[66:67], v[124:125], s[0:1], v[130:131]
	v_cmp_gt_u16_e64 s0, 51, v3
	v_add_f64 v[68:69], v[84:85], v[86:87]
	v_add_f64 v[70:71], v[92:93], -v[112:113]
	v_add_f64 v[72:73], v[100:101], v[102:103]
	v_add_f64 v[74:75], v[104:105], -v[98:99]
	;; [unrolled: 2-line block ×3, first 2 shown]
	v_add_f64 v[60:61], v[60:61], v[110:111]
	v_fma_f64 v[88:89], v[88:89], -2.0, v[64:65]
	v_add_f64 v[62:63], v[62:63], v[114:115]
	v_fma_f64 v[90:91], v[90:91], 2.0, v[66:67]
	v_fma_f64 v[84:85], v[84:85], -2.0, v[68:69]
	v_fma_f64 v[86:87], v[112:113], 2.0, v[70:71]
	v_fma_f64 v[92:93], v[100:101], -2.0, v[72:73]
	;; [unrolled: 2-line block ×3, first 2 shown]
	v_fma_f64 v[98:99], v[108:109], 2.0, v[78:79]
	ds_write_b128 v148, v[64:67] offset:816
	ds_write_b128 v148, v[60:63]
	ds_write_b128 v148, v[68:71] offset:272
	ds_write_b128 v148, v[72:75] offset:1088
	ds_write_b128 v148, v[88:91] offset:1632
	ds_write_b128 v148, v[76:79] offset:544
	ds_write_b128 v148, v[92:95] offset:1360
	ds_write_b128 v148, v[84:87] offset:2176
	ds_write_b128 v148, v[96:99] offset:1904
	s_waitcnt lgkmcnt(0)
	s_barrier
	buffer_gl0_inv
	ds_read_b128 v[96:99], v255
	ds_read_b128 v[92:95], v255 offset:1632
	ds_read_b128 v[108:111], v255 offset:7344
	;; [unrolled: 1-line block ×7, first 2 shown]
	s_and_saveexec_b32 s1, s0
	s_cbranch_execz .LBB0_9
; %bb.8:
	ds_read_b128 v[84:87], v255 offset:6528
	ds_read_b128 v[80:83], v255 offset:13872
.LBB0_9:
	s_or_b32 exec_lo, exec_lo, s1
	buffer_load_dword v141, off, s[60:63], 0 ; 4-byte Folded Reload
	v_mov_b32_e32 v72, 0x358b
	s_waitcnt vmcnt(0)
	v_add_co_u32 v120, s1, 0x66, v141
	v_add_co_ci_u32_e64 v0, null, 0, 0, s1
	v_add_co_u32 v1, s1, 0xffffffcd, v141
	v_add_co_ci_u32_e64 v2, null, 0, -1, s1
	v_add_nc_u32_e32 v3, 0x132, v141
	v_cndmask_b32_e64 v128, v1, v120, s0
	v_add_co_u32 v121, s1, s2, v255
	v_cndmask_b32_e64 v129, v2, v0, s0
	v_mul_u32_u24_sdwa v0, v3, v72 dst_sel:DWORD dst_unused:UNUSED_PAD src0_sel:WORD_0 src1_sel:DWORD
	v_add_co_ci_u32_e64 v122, null, s3, 0, s1
	v_add_co_u32 v62, s1, 0x800, v121
	v_lshrrev_b32_e32 v0, 21, v0
	v_lshlrev_b64 v[60:61], 4, v[128:129]
	v_add_nc_u32_e32 v123, 0x198, v141
	v_add_co_ci_u32_e64 v63, s1, 0, v122, s1
	v_mul_lo_u16 v0, 0x99, v0
	s_clause 0x1
	global_load_dwordx4 v[68:71], v[62:63], off offset:128
	global_load_dwordx4 v[64:67], v[62:63], off offset:944
	v_add_co_u32 v1, s1, s2, v60
	v_sub_nc_u16 v0, v3, v0
	v_mov_b32_e32 v3, 4
	v_add_co_ci_u32_e64 v2, s1, s3, v61, s1
	v_add_co_u32 v60, s1, 0x800, v1
	v_lshlrev_b32_sdwa v245, v3, v0 dst_sel:DWORD dst_unused:UNUSED_PAD src0_sel:DWORD src1_sel:WORD_0
	v_mul_u32_u24_sdwa v0, v123, v72 dst_sel:DWORD dst_unused:UNUSED_PAD src0_sel:WORD_0 src1_sel:DWORD
	v_add_co_ci_u32_e64 v61, s1, 0, v2, s1
	v_add_co_u32 v1, s1, s2, v245
	v_lshrrev_b32_e32 v0, 21, v0
	v_add_co_ci_u32_e64 v2, null, s3, 0, s1
	v_add_co_u32 v62, s1, 0x800, v1
	v_mul_lo_u16 v0, 0x99, v0
	v_add_co_ci_u32_e64 v63, s1, 0, v2, s1
	s_clause 0x1
	global_load_dwordx4 v[76:79], v[60:61], off offset:128
	global_load_dwordx4 v[72:75], v[62:63], off offset:128
	v_sub_nc_u16 v254, v123, v0
	v_lshlrev_b32_sdwa v123, v3, v254 dst_sel:DWORD dst_unused:UNUSED_PAD src0_sel:DWORD src1_sel:WORD_0
	v_add_co_u32 v0, s1, s2, v123
	v_add_co_ci_u32_e64 v1, null, s3, 0, s1
	v_add_co_u32 v60, s1, 0x800, v0
	v_add_co_ci_u32_e64 v61, s1, 0, v1, s1
	v_cmp_lt_u16_e64 s1, 50, v141
	global_load_dwordx4 v[0:3], v[60:61], off offset:128
	s_waitcnt vmcnt(4) lgkmcnt(5)
	v_mul_f64 v[126:127], v[108:109], v[70:71]
	s_waitcnt vmcnt(3) lgkmcnt(1)
	v_mul_f64 v[129:130], v[118:119], v[66:67]
	v_mul_f64 v[135:136], v[116:117], v[66:67]
	;; [unrolled: 1-line block ×3, first 2 shown]
	v_fma_f64 v[110:111], v[110:111], v[68:69], v[126:127]
	v_fma_f64 v[116:117], v[116:117], v[64:65], -v[129:130]
	v_fma_f64 v[108:109], v[108:109], v[68:69], -v[124:125]
	s_waitcnt vmcnt(2)
	v_mul_f64 v[131:132], v[106:107], v[78:79]
	v_mul_f64 v[133:134], v[104:105], v[78:79]
	s_waitcnt vmcnt(1) lgkmcnt(0)
	v_mul_f64 v[137:138], v[114:115], v[74:75]
	v_mul_f64 v[139:140], v[112:113], v[74:75]
	v_fma_f64 v[124:125], v[118:119], v[64:65], v[135:136]
	v_add_f64 v[110:111], v[98:99], -v[110:111]
	v_add_f64 v[108:109], v[96:97], -v[108:109]
	v_fma_f64 v[104:105], v[104:105], v[76:77], -v[131:132]
	v_fma_f64 v[106:107], v[106:107], v[76:77], v[133:134]
	s_waitcnt vmcnt(0)
	v_mul_f64 v[131:132], v[82:83], v[2:3]
	v_fma_f64 v[126:127], v[112:113], v[72:73], -v[137:138]
	v_mul_f64 v[133:134], v[80:81], v[2:3]
	v_add_f64 v[112:113], v[100:101], -v[116:117]
	v_fma_f64 v[129:130], v[114:115], v[72:73], v[139:140]
	v_add_f64 v[114:115], v[102:103], -v[124:125]
	v_add_f64 v[116:117], v[92:93], -v[104:105]
	;; [unrolled: 1-line block ×3, first 2 shown]
	v_fma_f64 v[104:105], v[80:81], v[0:1], -v[131:132]
	buffer_store_dword v0, off, s[60:63], 0 offset:72 ; 4-byte Folded Spill
	buffer_store_dword v1, off, s[60:63], 0 offset:76 ; 4-byte Folded Spill
	;; [unrolled: 1-line block ×4, first 2 shown]
	v_add_f64 v[124:125], v[88:89], -v[126:127]
	v_fma_f64 v[80:81], v[96:97], 2.0, -v[108:109]
	v_add_f64 v[126:127], v[90:91], -v[129:130]
	v_fma_f64 v[96:97], v[100:101], 2.0, -v[112:113]
	s_waitcnt_vscnt null, 0x0
	s_barrier
	buffer_gl0_inv
	v_fma_f64 v[92:93], v[92:93], 2.0, -v[116:117]
	v_fma_f64 v[94:95], v[94:95], 2.0, -v[118:119]
	v_add_f64 v[104:105], v[84:85], -v[104:105]
	v_fma_f64 v[88:89], v[88:89], 2.0, -v[124:125]
	v_fma_f64 v[90:91], v[90:91], 2.0, -v[126:127]
	v_fma_f64 v[106:107], v[82:83], v[0:1], v[133:134]
	v_fma_f64 v[82:83], v[98:99], 2.0, -v[110:111]
	v_fma_f64 v[98:99], v[102:103], 2.0, -v[114:115]
	v_cndmask_b32_e64 v0, 0, 0x132, s1
	v_add_lshl_u32 v0, v128, v0, 4
	ds_write_b128 v255, v[108:111] offset:2448
	ds_write_b128 v255, v[80:83]
	ds_write_b128 v0, v[116:119] offset:2448
	v_add_f64 v[106:107], v[86:87], -v[106:107]
	buffer_store_dword v0, off, s[60:63], 0 offset:32 ; 4-byte Folded Spill
	ds_write_b128 v0, v[92:95]
	ds_write_b128 v255, v[96:99] offset:5712
	ds_write_b128 v255, v[112:115] offset:8160
	ds_write_b128 v245, v[88:91] offset:9792
	ds_write_b128 v245, v[124:127] offset:12240
	s_mov_b32 s1, exec_lo
	s_clause 0x3
	buffer_load_dword v30, off, s[60:63], 0 offset:12
	buffer_load_dword v31, off, s[60:63], 0 offset:16
	;; [unrolled: 1-line block ×4, first 2 shown]
	s_and_b32 s8, s1, s0
	s_mov_b32 exec_lo, s8
	s_cbranch_execz .LBB0_11
; %bb.10:
	v_fma_f64 v[82:83], v[86:87], 2.0, -v[106:107]
	v_fma_f64 v[80:81], v[84:85], 2.0, -v[104:105]
	ds_write_b128 v123, v[80:83] offset:9792
	ds_write_b128 v123, v[104:107] offset:12240
.LBB0_11:
	s_or_b32 exec_lo, exec_lo, s1
	v_add_co_u32 v0, s1, v121, v255
	v_add_co_ci_u32_e64 v1, s1, 0, v122, s1
	s_waitcnt vmcnt(0) lgkmcnt(0)
	s_waitcnt_vscnt null, 0x0
	v_add_co_u32 v80, s1, 0x1000, v0
	v_add_co_ci_u32_e64 v81, s1, 0, v1, s1
	v_add_co_u32 v84, s1, 0x1210, v0
	v_add_co_ci_u32_e64 v85, s1, 0, v1, s1
	s_barrier
	buffer_gl0_inv
	s_clause 0x1
	global_load_dwordx4 v[80:83], v[80:81], off offset:528
	global_load_dwordx4 v[84:87], v[84:85], off offset:16
	buffer_load_dword v2, off, s[60:63], 0  ; 4-byte Folded Reload
	v_lshlrev_b32_e32 v0, 5, v120
	s_mov_b32 s9, 0xbfebb67a
	v_add_co_u32 v0, s1, s2, v0
	v_add_co_ci_u32_e64 v1, null, s3, 0, s1
	v_add_co_u32 v92, s1, 0x1210, v0
	v_add_co_ci_u32_e64 v93, s1, 0, v1, s1
	s_waitcnt vmcnt(0)
	v_lshl_add_u32 v2, v2, 5, 0x1980
	v_add_co_u32 v2, s1, s2, v2
	v_add_co_ci_u32_e64 v3, null, s3, 0, s1
	v_add_co_u32 v88, s1, 0x1000, v0
	v_add_co_ci_u32_e64 v89, s1, 0, v1, s1
	v_add_co_u32 v100, s1, 0x1210, v2
	v_add_co_ci_u32_e64 v101, s1, 0, v3, s1
	;; [unrolled: 2-line block ×3, first 2 shown]
	s_clause 0x3
	global_load_dwordx4 v[88:91], v[88:89], off offset:528
	global_load_dwordx4 v[92:95], v[92:93], off offset:16
	;; [unrolled: 1-line block ×4, first 2 shown]
	ds_read_b128 v[108:111], v255 offset:4896
	ds_read_b128 v[112:115], v255 offset:9792
	;; [unrolled: 1-line block ×7, first 2 shown]
	s_mov_b32 s2, 0xe8584caa
	s_mov_b32 s3, 0x3febb67a
	;; [unrolled: 1-line block ×3, first 2 shown]
	s_waitcnt lgkmcnt(6)
	v_mul_f64 v[136:137], v[110:111], v[82:83]
	s_waitcnt lgkmcnt(5)
	v_mul_f64 v[138:139], v[114:115], v[86:87]
	v_mul_f64 v[140:141], v[108:109], v[82:83]
	v_mul_f64 v[142:143], v[112:113], v[86:87]
	v_fma_f64 v[136:137], v[108:109], v[80:81], -v[136:137]
	v_fma_f64 v[138:139], v[112:113], v[84:85], -v[138:139]
	v_fma_f64 v[140:141], v[110:111], v[80:81], v[140:141]
	v_fma_f64 v[142:143], v[114:115], v[84:85], v[142:143]
	ds_read_b128 v[108:111], v255
	ds_read_b128 v[112:115], v255 offset:1632
	v_add_f64 v[169:170], v[136:137], -v[138:139]
	s_waitcnt vmcnt(3) lgkmcnt(6)
	v_mul_f64 v[144:145], v[118:119], v[90:91]
	s_waitcnt vmcnt(2) lgkmcnt(5)
	v_mul_f64 v[146:147], v[122:123], v[94:95]
	v_mul_f64 v[149:150], v[116:117], v[90:91]
	;; [unrolled: 1-line block ×3, first 2 shown]
	s_waitcnt vmcnt(1) lgkmcnt(4)
	v_mul_f64 v[153:154], v[126:127], v[98:99]
	s_waitcnt vmcnt(0) lgkmcnt(3)
	v_mul_f64 v[155:156], v[130:131], v[102:103]
	v_mul_f64 v[157:158], v[124:125], v[98:99]
	;; [unrolled: 1-line block ×3, first 2 shown]
	v_fma_f64 v[116:117], v[116:117], v[88:89], -v[144:145]
	v_fma_f64 v[120:121], v[120:121], v[92:93], -v[146:147]
	v_fma_f64 v[118:119], v[118:119], v[88:89], v[149:150]
	v_fma_f64 v[122:123], v[122:123], v[92:93], v[151:152]
	v_fma_f64 v[124:125], v[124:125], v[96:97], -v[153:154]
	v_fma_f64 v[128:129], v[128:129], v[100:101], -v[155:156]
	v_fma_f64 v[126:127], v[126:127], v[96:97], v[157:158]
	v_fma_f64 v[130:131], v[130:131], v[100:101], v[159:160]
	v_add_f64 v[144:145], v[136:137], v[138:139]
	v_add_f64 v[146:147], v[140:141], v[142:143]
	s_waitcnt lgkmcnt(1)
	v_add_f64 v[157:158], v[108:109], v[136:137]
	v_add_f64 v[159:160], v[140:141], -v[142:143]
	v_add_f64 v[140:141], v[110:111], v[140:141]
	s_waitcnt lgkmcnt(0)
	v_add_f64 v[161:162], v[112:113], v[116:117]
	v_add_f64 v[149:150], v[116:117], v[120:121]
	;; [unrolled: 1-line block ×8, first 2 shown]
	v_fma_f64 v[108:109], v[144:145], -0.5, v[108:109]
	v_fma_f64 v[110:111], v[146:147], -0.5, v[110:111]
	v_add_f64 v[118:119], v[118:119], -v[122:123]
	v_add_f64 v[116:117], v[116:117], -v[120:121]
	;; [unrolled: 1-line block ×4, first 2 shown]
	v_add_f64 v[136:137], v[161:162], v[120:121]
	v_fma_f64 v[149:150], v[149:150], -0.5, v[112:113]
	v_add_f64 v[112:113], v[157:158], v[138:139]
	v_fma_f64 v[151:152], v[151:152], -0.5, v[114:115]
	;; [unrolled: 2-line block ×4, first 2 shown]
	v_add_f64 v[124:125], v[165:166], v[128:129]
	v_add_f64 v[126:127], v[167:168], v[130:131]
	v_fma_f64 v[144:145], v[159:160], s[2:3], v[108:109]
	v_fma_f64 v[140:141], v[159:160], s[8:9], v[108:109]
	;; [unrolled: 1-line block ×12, first 2 shown]
	ds_write_b128 v255, v[112:115]
	ds_write_b128 v255, v[136:139] offset:1632
	ds_write_b128 v255, v[124:127] offset:3264
	;; [unrolled: 1-line block ×8, first 2 shown]
	s_waitcnt lgkmcnt(0)
	s_barrier
	buffer_gl0_inv
	s_and_saveexec_b32 s2, vcc_lo
	s_cbranch_execz .LBB0_13
; %bb.12:
	v_add_co_u32 v0, s1, s12, v255
	v_add_co_ci_u32_e64 v1, null, s13, 0, s1
	v_add_co_u32 v108, s1, 0x3800, v0
	v_add_co_ci_u32_e64 v109, s1, 0, v1, s1
	v_add_co_u32 v153, s1, 0x3960, v0
	v_add_co_ci_u32_e64 v154, s1, 0, v1, s1
	;; [unrolled: 2-line block ×3, first 2 shown]
	s_clause 0x4
	global_load_dwordx4 v[108:111], v[108:109], off offset:352
	global_load_dwordx4 v[149:152], v[153:154], off offset:864
	;; [unrolled: 1-line block ×5, first 2 shown]
	v_add_co_u32 v169, s1, 0x4800, v0
	v_add_co_ci_u32_e64 v170, s1, 0, v1, s1
	v_add_co_u32 v181, s1, 0x5000, v0
	v_add_co_ci_u32_e64 v182, s1, 0, v1, s1
	s_clause 0x4
	global_load_dwordx4 v[165:168], v[169:170], off offset:576
	global_load_dwordx4 v[169:172], v[169:170], off offset:1440
	global_load_dwordx4 v[173:176], v[181:182], off offset:256
	global_load_dwordx4 v[177:180], v[181:182], off offset:1120
	global_load_dwordx4 v[181:184], v[181:182], off offset:1984
	v_add_co_u32 v189, s1, 0x5800, v0
	v_add_co_ci_u32_e64 v190, s1, 0, v1, s1
	v_add_co_u32 v197, s1, 0x6000, v0
	v_add_co_ci_u32_e64 v198, s1, 0, v1, s1
	;; [unrolled: 2-line block ×3, first 2 shown]
	s_clause 0x6
	global_load_dwordx4 v[185:188], v[189:190], off offset:800
	global_load_dwordx4 v[189:192], v[189:190], off offset:1664
	;; [unrolled: 1-line block ×7, first 2 shown]
	ds_read_b128 v[213:216], v255
	ds_read_b128 v[217:220], v255 offset:864
	ds_read_b128 v[221:224], v255 offset:1728
	;; [unrolled: 1-line block ×7, first 2 shown]
	s_waitcnt vmcnt(16) lgkmcnt(7)
	v_mul_f64 v[248:249], v[215:216], v[110:111]
	s_waitcnt vmcnt(14) lgkmcnt(5)
	v_mul_f64 v[252:253], v[223:224], v[155:156]
	v_mul_f64 v[110:111], v[213:214], v[110:111]
	;; [unrolled: 1-line block ×5, first 2 shown]
	s_waitcnt vmcnt(13) lgkmcnt(4)
	v_mul_f64 v[246:247], v[227:228], v[159:160]
	v_mul_f64 v[159:160], v[225:226], v[159:160]
	s_waitcnt vmcnt(12) lgkmcnt(3)
	v_mul_f64 v[0:1], v[231:232], v[163:164]
	v_mul_f64 v[2:3], v[229:230], v[163:164]
	;; [unrolled: 3-line block ×4, first 2 shown]
	v_fma_f64 v[213:214], v[213:214], v[108:109], -v[248:249]
	v_fma_f64 v[221:222], v[221:222], v[153:154], -v[252:253]
	s_waitcnt vmcnt(9) lgkmcnt(0)
	v_mul_f64 v[252:253], v[243:244], v[175:176]
	v_mul_f64 v[175:176], v[241:242], v[175:176]
	v_fma_f64 v[215:216], v[215:216], v[108:109], v[110:111]
	ds_read_b128 v[108:111], v255 offset:6912
	v_fma_f64 v[217:218], v[217:218], v[149:150], -v[250:251]
	v_fma_f64 v[219:220], v[219:220], v[149:150], v[151:152]
	ds_read_b128 v[149:152], v255 offset:7776
	v_fma_f64 v[223:224], v[223:224], v[153:154], v[155:156]
	ds_read_b128 v[153:156], v255 offset:8640
	v_fma_f64 v[225:226], v[225:226], v[157:158], -v[246:247]
	v_fma_f64 v[227:228], v[227:228], v[157:158], v[159:160]
	ds_read_b128 v[157:160], v255 offset:9504
	v_fma_f64 v[229:230], v[229:230], v[161:162], -v[0:1]
	v_fma_f64 v[231:232], v[231:232], v[161:162], v[2:3]
	ds_read_b128 v[161:164], v255 offset:10368
	ds_read_b128 v[248:251], v255 offset:11232
	v_fma_f64 v[233:234], v[233:234], v[165:166], -v[60:61]
	v_fma_f64 v[235:236], v[235:236], v[165:166], v[62:63]
	v_fma_f64 v[165:166], v[237:238], v[169:170], -v[167:168]
	v_fma_f64 v[167:168], v[239:240], v[169:170], v[171:172]
	ds_read_b128 v[169:172], v255 offset:12096
	ds_read_b128 v[237:240], v255 offset:12960
	v_fma_f64 v[241:242], v[241:242], v[173:174], -v[252:253]
	v_fma_f64 v[243:244], v[243:244], v[173:174], v[175:176]
	ds_read_b128 v[173:176], v255 offset:13824
	s_clause 0x3
	buffer_load_dword v30, off, s[60:63], 0 offset:12
	buffer_load_dword v31, off, s[60:63], 0 offset:16
	;; [unrolled: 1-line block ×4, first 2 shown]
	s_waitcnt vmcnt(12) lgkmcnt(8)
	v_mul_f64 v[246:247], v[110:111], v[179:180]
	v_mul_f64 v[179:180], v[108:109], v[179:180]
	s_waitcnt vmcnt(11) lgkmcnt(7)
	v_mul_f64 v[0:1], v[151:152], v[183:184]
	v_mul_f64 v[2:3], v[149:150], v[183:184]
	;; [unrolled: 3-line block ×4, first 2 shown]
	s_waitcnt vmcnt(7) lgkmcnt(3)
	v_mul_f64 v[191:192], v[250:251], v[199:200]
	v_fma_f64 v[108:109], v[108:109], v[177:178], -v[246:247]
	v_fma_f64 v[110:111], v[110:111], v[177:178], v[179:180]
	v_mul_f64 v[177:178], v[163:164], v[195:196]
	v_mul_f64 v[179:180], v[161:162], v[195:196]
	;; [unrolled: 1-line block ×3, first 2 shown]
	v_fma_f64 v[149:150], v[149:150], v[181:182], -v[0:1]
	v_fma_f64 v[151:152], v[151:152], v[181:182], v[2:3]
	s_waitcnt vmcnt(6) lgkmcnt(2)
	v_mul_f64 v[0:1], v[171:172], v[203:204]
	v_mul_f64 v[2:3], v[169:170], v[203:204]
	s_waitcnt vmcnt(5) lgkmcnt(1)
	v_mul_f64 v[181:182], v[239:240], v[207:208]
	v_mul_f64 v[199:200], v[237:238], v[207:208]
	v_fma_f64 v[153:154], v[153:154], v[185:186], -v[60:61]
	v_fma_f64 v[155:156], v[155:156], v[185:186], v[62:63]
	s_waitcnt vmcnt(4) lgkmcnt(0)
	v_mul_f64 v[60:61], v[175:176], v[211:212]
	v_mul_f64 v[62:63], v[173:174], v[211:212]
	v_fma_f64 v[157:158], v[157:158], v[189:190], -v[183:184]
	v_fma_f64 v[159:160], v[159:160], v[189:190], v[187:188]
	v_fma_f64 v[161:162], v[161:162], v[193:194], -v[177:178]
	v_fma_f64 v[163:164], v[163:164], v[193:194], v[179:180]
	;; [unrolled: 2-line block ×6, first 2 shown]
	ds_write_b128 v255, v[213:216]
	ds_write_b128 v255, v[217:220] offset:864
	ds_write_b128 v255, v[221:224] offset:1728
	;; [unrolled: 1-line block ×16, first 2 shown]
.LBB0_13:
	s_or_b32 exec_lo, exec_lo, s2
	s_waitcnt vmcnt(0) lgkmcnt(0)
	s_barrier
	buffer_gl0_inv
	s_and_saveexec_b32 s1, vcc_lo
	s_cbranch_execz .LBB0_15
; %bb.14:
	ds_read_b128 v[112:115], v255
	ds_read_b128 v[144:147], v255 offset:864
	ds_read_b128 v[140:143], v255 offset:1728
	;; [unrolled: 1-line block ×16, first 2 shown]
.LBB0_15:
	s_or_b32 exec_lo, exec_lo, s1
	s_waitcnt lgkmcnt(0)
	v_add_f64 v[209:210], v[146:147], -v[32:33]
	s_mov_b32 s8, 0xacd6c6b4
	s_mov_b32 s9, 0xbfc7851a
	v_add_f64 v[213:214], v[146:147], v[32:33]
	v_add_f64 v[205:206], v[144:145], v[30:31]
	v_add_f64 v[149:150], v[142:143], -v[6:7]
	s_mov_b32 s2, 0x7faef3
	s_mov_b32 s16, 0x5d8e7cdc
	;; [unrolled: 1-line block ×4, first 2 shown]
	v_add_f64 v[217:218], v[144:145], -v[30:31]
	v_add_f64 v[153:154], v[142:143], v[6:7]
	v_add_f64 v[151:152], v[140:141], v[4:5]
	v_add_f64 v[155:156], v[138:139], -v[10:11]
	s_mov_b32 s10, 0x370991
	s_mov_b32 s18, 0x4363dd80
	s_mov_b32 s11, 0x3fedd6d0
	s_mov_b32 s19, 0xbfe0d888
	v_add_f64 v[161:162], v[140:141], -v[4:5]
	v_add_f64 v[159:160], v[138:139], v[10:11]
	v_add_f64 v[157:158], v[136:137], v[8:9]
	v_add_f64 v[199:200], v[134:135], -v[14:15]
	v_mul_f64 v[219:220], v[209:210], s[8:9]
	s_mov_b32 s24, 0x2a9d6da3
	s_mov_b32 s25, 0x3fe58eea
	v_mul_f64 v[221:222], v[213:214], s[2:3]
	v_add_f64 v[171:172], v[136:137], -v[8:9]
	v_mul_f64 v[207:208], v[149:150], s[16:17]
	v_add_f64 v[163:164], v[132:133], v[12:13]
	v_add_f64 v[187:188], v[134:135], v[14:15]
	s_mov_b32 s22, 0x75d4884
	s_mov_b32 s23, 0x3fe7a5f6
	v_add_f64 v[193:194], v[132:133], -v[12:13]
	v_mul_f64 v[211:212], v[153:154], s[10:11]
	v_add_f64 v[185:186], v[130:131], -v[18:19]
	v_mul_f64 v[215:216], v[155:156], s[18:19]
	s_mov_b32 s28, 0x6c9a05f6
	s_mov_b32 s29, 0xbfe9895b
	v_add_f64 v[175:176], v[128:129], v[16:17]
	v_add_f64 v[197:198], v[130:131], v[18:19]
	s_mov_b32 s26, 0x6ed5f1bb
	v_mul_f64 v[225:226], v[159:160], s[20:21]
	s_mov_b32 s27, 0xbfe348c8
	v_mul_f64 v[223:224], v[199:200], s[24:25]
	v_fma_f64 v[0:1], v[205:206], s[2:3], -v[219:220]
	v_add_f64 v[165:166], v[128:129], -v[16:17]
	v_add_f64 v[195:196], v[126:127], -v[22:23]
	v_fma_f64 v[2:3], v[217:218], s[8:9], v[221:222]
	s_mov_b32 s34, 0x7c9e640b
	v_fma_f64 v[60:61], v[151:152], s[10:11], -v[207:208]
	s_mov_b32 s35, 0x3feca52d
	v_mul_f64 v[227:228], v[187:188], s[22:23]
	v_add_f64 v[177:178], v[124:125], v[20:21]
	v_add_f64 v[189:190], v[126:127], v[22:23]
	s_mov_b32 s30, 0x2b2883cd
	v_fma_f64 v[62:63], v[161:162], s[16:17], v[211:212]
	s_mov_b32 s31, 0x3fdc86fa
	v_fma_f64 v[108:109], v[157:158], s[20:21], -v[215:216]
	v_add_f64 v[179:180], v[124:125], -v[20:21]
	v_add_f64 v[191:192], v[122:123], -v[26:27]
	s_mov_b32 s40, 0x923c349f
	v_mul_f64 v[229:230], v[197:198], s[26:27]
	s_mov_b32 s41, 0xbfeec746
	v_add_f64 v[173:174], v[120:121], v[24:25]
	v_add_f64 v[181:182], v[122:123], v[26:27]
	s_mov_b32 s38, 0xc61f0d01
	v_add_f64 v[0:1], v[112:113], v[0:1]
	s_mov_b32 s39, 0xbfd183b1
	v_mul_f64 v[233:234], v[195:196], s[34:35]
	v_add_f64 v[2:3], v[114:115], v[2:3]
	v_add_f64 v[239:240], v[120:121], -v[24:25]
	v_add_f64 v[201:202], v[118:119], -v[106:107]
	s_mov_b32 s42, 0xeb564b22
	s_mov_b32 s43, 0x3fefdd0d
	v_add_f64 v[167:168], v[116:117], v[104:105]
	v_mul_f64 v[243:244], v[189:190], s[30:31]
	v_add_f64 v[169:170], v[118:119], v[106:107]
	s_mov_b32 s36, 0x3259b75e
	s_mov_b32 s37, 0x3fb79ee6
	v_add_f64 v[183:184], v[116:117], -v[104:105]
	v_mul_f64 v[241:242], v[191:192], s[40:41]
	s_barrier
	buffer_gl0_inv
	v_mul_f64 v[203:204], v[181:182], s[38:39]
	v_add_f64 v[0:1], v[60:61], v[0:1]
	v_fma_f64 v[60:61], v[171:172], s[18:19], v[225:226]
	v_add_f64 v[2:3], v[62:63], v[2:3]
	v_fma_f64 v[62:63], v[163:164], s[22:23], -v[223:224]
	v_mul_f64 v[237:238], v[201:202], s[42:43]
	v_mul_f64 v[28:29], v[169:170], s[36:37]
	v_add_f64 v[0:1], v[108:109], v[0:1]
	v_add_f64 v[2:3], v[60:61], v[2:3]
	v_fma_f64 v[60:61], v[193:194], s[24:25], v[227:228]
	v_add_f64 v[0:1], v[62:63], v[0:1]
	v_mul_f64 v[62:63], v[185:186], s[28:29]
	v_add_f64 v[2:3], v[60:61], v[2:3]
	v_fma_f64 v[60:61], v[175:176], s[26:27], -v[62:63]
	v_add_f64 v[0:1], v[60:61], v[0:1]
	v_fma_f64 v[60:61], v[165:166], s[28:29], v[229:230]
	v_add_f64 v[2:3], v[60:61], v[2:3]
	v_fma_f64 v[60:61], v[177:178], s[30:31], -v[233:234]
	v_add_f64 v[0:1], v[60:61], v[0:1]
	v_fma_f64 v[60:61], v[179:180], s[34:35], v[243:244]
	v_add_f64 v[2:3], v[60:61], v[2:3]
	v_fma_f64 v[60:61], v[173:174], s[38:39], -v[241:242]
	v_add_f64 v[0:1], v[60:61], v[0:1]
	v_fma_f64 v[60:61], v[239:240], s[40:41], v[203:204]
	v_add_f64 v[2:3], v[60:61], v[2:3]
	v_fma_f64 v[60:61], v[167:168], s[36:37], -v[237:238]
	v_add_f64 v[108:109], v[60:61], v[0:1]
	v_fma_f64 v[0:1], v[183:184], s[42:43], v[28:29]
	v_add_f64 v[110:111], v[0:1], v[2:3]
	s_and_saveexec_b32 s1, vcc_lo
	s_cbranch_execz .LBB0_17
; %bb.16:
	v_add_f64 v[0:1], v[114:115], v[146:147]
	v_add_f64 v[2:3], v[112:113], v[144:145]
	s_mov_b32 s51, 0xbfd71e95
	s_mov_b32 s50, s16
	;; [unrolled: 1-line block ×8, first 2 shown]
	v_mov_b32_e32 v236, v63
	v_mul_f64 v[60:61], v[217:218], s[8:9]
	v_mov_b32_e32 v235, v62
	v_mul_f64 v[62:63], v[205:206], s[2:3]
	v_mul_f64 v[144:145], v[209:210], s[40:41]
	;; [unrolled: 1-line block ×3, first 2 shown]
	v_mov_b32_e32 v231, v233
	v_mov_b32_e32 v232, v234
	;; [unrolled: 1-line block ×6, first 2 shown]
	v_add_f64 v[0:1], v[0:1], v[142:143]
	v_add_f64 v[2:3], v[2:3], v[140:141]
	v_mul_f64 v[140:141], v[209:210], s[18:19]
	v_mul_f64 v[142:143], v[209:210], s[28:29]
	v_mov_b32_e32 v216, v208
	v_mov_b32_e32 v215, v207
	s_mov_b32 s55, 0x3fe9895b
	s_mov_b32 s54, s28
	;; [unrolled: 1-line block ×5, first 2 shown]
	v_add_f64 v[60:61], v[221:222], -v[60:61]
	s_mov_b32 s56, s18
	v_add_f64 v[62:63], v[62:63], v[219:220]
	v_fma_f64 v[246:247], v[205:206], s[38:39], -v[144:145]
	v_fma_f64 v[144:145], v[205:206], s[38:39], v[144:145]
	v_fma_f64 v[248:249], v[205:206], s[36:37], -v[146:147]
	v_fma_f64 v[146:147], v[205:206], s[36:37], v[146:147]
	v_add_f64 v[0:1], v[0:1], v[138:139]
	v_add_f64 v[2:3], v[2:3], v[136:137]
	v_fma_f64 v[219:220], v[205:206], s[20:21], -v[140:141]
	v_fma_f64 v[140:141], v[205:206], s[20:21], v[140:141]
	v_fma_f64 v[221:222], v[205:206], s[26:27], -v[142:143]
	v_fma_f64 v[142:143], v[205:206], s[26:27], v[142:143]
	v_add_f64 v[60:61], v[114:115], v[60:61]
	v_add_f64 v[62:63], v[112:113], v[62:63]
	;; [unrolled: 1-line block ×12, first 2 shown]
	v_mul_f64 v[124:125], v[217:218], s[50:51]
	v_add_f64 v[0:1], v[0:1], v[122:123]
	v_add_f64 v[2:3], v[2:3], v[120:121]
	v_mul_f64 v[120:121], v[217:218], s[46:47]
	v_mul_f64 v[122:123], v[217:218], s[48:49]
	v_fma_f64 v[138:139], v[213:214], s[10:11], -v[124:125]
	v_fma_f64 v[124:125], v[213:214], s[10:11], v[124:125]
	v_add_f64 v[0:1], v[0:1], v[118:119]
	v_add_f64 v[2:3], v[2:3], v[116:117]
	v_mul_f64 v[116:117], v[217:218], s[40:41]
	v_mul_f64 v[118:119], v[217:218], s[44:45]
	v_fma_f64 v[134:135], v[213:214], s[30:31], v[120:121]
	v_fma_f64 v[120:121], v[213:214], s[30:31], -v[120:121]
	v_fma_f64 v[136:137], v[213:214], s[22:23], -v[122:123]
	v_fma_f64 v[122:123], v[213:214], s[22:23], v[122:123]
	v_add_f64 v[138:139], v[114:115], v[138:139]
	v_add_f64 v[0:1], v[0:1], v[106:107]
	;; [unrolled: 1-line block ×3, first 2 shown]
	v_mul_f64 v[104:105], v[217:218], s[18:19]
	v_mul_f64 v[106:107], v[217:218], s[28:29]
	v_fma_f64 v[130:131], v[213:214], s[38:39], -v[116:117]
	v_fma_f64 v[116:117], v[213:214], s[38:39], v[116:117]
	v_fma_f64 v[132:133], v[213:214], s[36:37], v[118:119]
	v_fma_f64 v[118:119], v[213:214], s[36:37], -v[118:119]
	v_mul_f64 v[217:218], v[209:210], s[48:49]
	v_add_f64 v[134:135], v[114:115], v[134:135]
	v_add_f64 v[120:121], v[114:115], v[120:121]
	;; [unrolled: 1-line block ×6, first 2 shown]
	v_fma_f64 v[126:127], v[213:214], s[20:21], v[104:105]
	v_fma_f64 v[104:105], v[213:214], s[20:21], -v[104:105]
	v_fma_f64 v[128:129], v[213:214], s[26:27], v[106:107]
	v_fma_f64 v[106:107], v[213:214], s[26:27], -v[106:107]
	v_mul_f64 v[213:214], v[209:210], s[46:47]
	v_mul_f64 v[209:210], v[209:210], s[50:51]
	v_fma_f64 v[252:253], v[205:206], s[22:23], v[217:218]
	v_fma_f64 v[217:218], v[205:206], s[22:23], -v[217:218]
	v_mul_f64 v[24:25], v[161:162], s[16:17]
	v_mul_f64 v[26:27], v[151:152], s[10:11]
	v_add_f64 v[130:131], v[114:115], v[130:131]
	v_add_f64 v[116:117], v[114:115], v[116:117]
	;; [unrolled: 1-line block ×10, first 2 shown]
	v_fma_f64 v[250:251], v[205:206], s[30:31], -v[213:214]
	v_fma_f64 v[213:214], v[205:206], s[30:31], v[213:214]
	v_fma_f64 v[207:208], v[205:206], s[10:11], v[209:210]
	v_fma_f64 v[205:206], v[205:206], s[10:11], -v[209:210]
	v_add_f64 v[209:210], v[112:113], v[219:220]
	v_add_f64 v[219:220], v[112:113], v[221:222]
	;; [unrolled: 1-line block ×6, first 2 shown]
	v_add_f64 v[24:25], v[211:212], -v[24:25]
	v_add_f64 v[26:27], v[26:27], v[215:216]
	v_mul_f64 v[124:125], v[171:172], s[18:19]
	v_mul_f64 v[211:212], v[193:194], s[24:25]
	;; [unrolled: 1-line block ×3, first 2 shown]
	v_add_f64 v[0:1], v[0:1], v[18:19]
	v_add_f64 v[2:3], v[2:3], v[16:17]
	;; [unrolled: 1-line block ×7, first 2 shown]
	v_mul_f64 v[205:206], v[157:158], s[20:21]
	v_add_f64 v[24:25], v[24:25], v[60:61]
	v_add_f64 v[26:27], v[26:27], v[62:63]
	v_add_f64 v[124:125], v[225:226], -v[124:125]
	v_add_f64 v[211:212], v[227:228], -v[211:212]
	v_add_f64 v[215:216], v[215:216], v[233:234]
	v_mul_f64 v[225:226], v[165:166], s[28:29]
	v_mul_f64 v[227:228], v[175:176], s[26:27]
	;; [unrolled: 1-line block ×5, first 2 shown]
	v_add_f64 v[2:3], v[2:3], v[12:13]
	v_add_f64 v[0:1], v[0:1], v[14:15]
	;; [unrolled: 1-line block ×3, first 2 shown]
	v_mul_f64 v[223:224], v[183:184], s[42:43]
	v_add_f64 v[24:25], v[124:125], v[24:25]
	v_mul_f64 v[124:125], v[177:178], s[30:31]
	v_add_f64 v[225:226], v[229:230], -v[225:226]
	v_add_f64 v[227:228], v[227:228], v[235:236]
	v_add_f64 v[62:63], v[243:244], -v[62:63]
	v_add_f64 v[60:61], v[203:204], -v[60:61]
	v_mul_f64 v[235:236], v[201:202], s[40:41]
	v_add_f64 v[2:3], v[2:3], v[8:9]
	v_add_f64 v[0:1], v[0:1], v[10:11]
	;; [unrolled: 1-line block ×3, first 2 shown]
	v_mul_f64 v[205:206], v[173:174], s[38:39]
	v_add_f64 v[223:224], v[28:29], -v[223:224]
	v_add_f64 v[24:25], v[211:212], v[24:25]
	v_add_f64 v[124:125], v[124:125], v[231:232]
	v_add_f64 v[2:3], v[2:3], v[4:5]
	v_mul_f64 v[4:5], v[161:162], s[56:57]
	v_add_f64 v[0:1], v[0:1], v[6:7]
	v_add_f64 v[26:27], v[215:216], v[26:27]
	;; [unrolled: 1-line block ×4, first 2 shown]
	v_fma_f64 v[6:7], v[153:154], s[20:21], -v[4:5]
	v_fma_f64 v[4:5], v[153:154], s[20:21], v[4:5]
	v_add_f64 v[26:27], v[227:228], v[26:27]
	v_add_f64 v[24:25], v[62:63], v[24:25]
	v_mul_f64 v[62:63], v[167:168], s[36:37]
	v_add_f64 v[6:7], v[6:7], v[130:131]
	v_add_f64 v[4:5], v[4:5], v[116:117]
	v_add_f64 v[26:27], v[124:125], v[26:27]
	v_mul_f64 v[124:125], v[171:172], s[44:45]
	v_add_f64 v[24:25], v[60:61], v[24:25]
	v_add_f64 v[62:63], v[62:63], v[237:238]
	;; [unrolled: 1-line block ×5, first 2 shown]
	v_mul_f64 v[60:61], v[161:162], s[34:35]
	v_mul_f64 v[62:63], v[149:150], s[34:35]
	v_fma_f64 v[20:21], v[153:154], s[30:31], v[60:61]
	v_fma_f64 v[22:23], v[151:152], s[30:31], -v[62:63]
	v_fma_f64 v[16:17], v[153:154], s[30:31], -v[60:61]
	v_fma_f64 v[18:19], v[151:152], s[30:31], v[62:63]
	v_fma_f64 v[60:61], v[159:160], s[36:37], -v[124:125]
	v_fma_f64 v[62:63], v[167:168], s[38:39], v[235:236]
	v_add_f64 v[20:21], v[20:21], v[126:127]
	v_fma_f64 v[126:127], v[159:160], s[36:37], v[124:125]
	v_add_f64 v[22:23], v[22:23], v[209:210]
	v_add_f64 v[16:17], v[16:17], v[104:105]
	;; [unrolled: 1-line block ×3, first 2 shown]
	v_mul_f64 v[104:105], v[171:172], s[50:51]
	v_add_f64 v[20:21], v[126:127], v[20:21]
	v_mul_f64 v[126:127], v[155:156], s[44:45]
	v_add_f64 v[16:17], v[60:61], v[16:17]
	v_fma_f64 v[124:125], v[159:160], s[10:11], v[104:105]
	v_fma_f64 v[205:206], v[157:158], s[36:37], -v[126:127]
	v_fma_f64 v[60:61], v[157:158], s[36:37], v[126:127]
	v_add_f64 v[22:23], v[205:206], v[22:23]
	v_mul_f64 v[205:206], v[193:194], s[54:55]
	v_add_f64 v[18:19], v[60:61], v[18:19]
	v_fma_f64 v[209:210], v[187:188], s[26:27], v[205:206]
	v_fma_f64 v[60:61], v[187:188], s[26:27], -v[205:206]
	v_add_f64 v[20:21], v[209:210], v[20:21]
	v_mul_f64 v[209:210], v[199:200], s[54:55]
	v_add_f64 v[16:17], v[60:61], v[16:17]
	v_fma_f64 v[211:212], v[163:164], s[26:27], -v[209:210]
	v_fma_f64 v[60:61], v[163:164], s[26:27], v[209:210]
	v_add_f64 v[22:23], v[211:212], v[22:23]
	v_mul_f64 v[211:212], v[165:166], s[50:51]
	v_add_f64 v[18:19], v[60:61], v[18:19]
	v_fma_f64 v[215:216], v[197:198], s[10:11], v[211:212]
	v_fma_f64 v[60:61], v[197:198], s[10:11], -v[211:212]
	v_add_f64 v[20:21], v[215:216], v[20:21]
	v_mul_f64 v[215:216], v[185:186], s[50:51]
	v_add_f64 v[16:17], v[60:61], v[16:17]
	;; [unrolled: 10-line block ×3, first 2 shown]
	v_fma_f64 v[227:228], v[177:178], s[2:3], -v[225:226]
	v_fma_f64 v[60:61], v[177:178], s[2:3], v[225:226]
	v_mul_f64 v[225:226], v[183:184], s[34:35]
	v_add_f64 v[22:23], v[227:228], v[22:23]
	v_mul_f64 v[227:228], v[239:240], s[24:25]
	v_add_f64 v[18:19], v[60:61], v[18:19]
	v_fma_f64 v[229:230], v[181:182], s[22:23], v[227:228]
	v_fma_f64 v[60:61], v[181:182], s[22:23], -v[227:228]
	v_mul_f64 v[227:228], v[201:202], s[34:35]
	v_add_f64 v[20:21], v[229:230], v[20:21]
	v_mul_f64 v[229:230], v[191:192], s[24:25]
	v_add_f64 v[16:17], v[60:61], v[16:17]
	v_fma_f64 v[60:61], v[173:174], s[22:23], v[229:230]
	v_fma_f64 v[231:232], v[173:174], s[22:23], -v[229:230]
	v_add_f64 v[60:61], v[60:61], v[18:19]
	v_fma_f64 v[18:19], v[169:170], s[38:39], -v[233:234]
	v_add_f64 v[231:232], v[231:232], v[22:23]
	v_fma_f64 v[22:23], v[169:170], s[38:39], v[233:234]
	v_add_f64 v[18:19], v[18:19], v[16:17]
	v_add_f64 v[16:17], v[62:63], v[60:61]
	v_mul_f64 v[60:61], v[161:162], s[52:53]
	v_mul_f64 v[62:63], v[149:150], s[52:53]
	v_add_f64 v[22:23], v[22:23], v[20:21]
	v_fma_f64 v[20:21], v[167:168], s[38:39], -v[235:236]
	v_fma_f64 v[12:13], v[153:154], s[38:39], v[60:61]
	v_fma_f64 v[14:15], v[151:152], s[38:39], -v[62:63]
	v_fma_f64 v[8:9], v[153:154], s[38:39], -v[60:61]
	v_fma_f64 v[10:11], v[151:152], s[38:39], v[62:63]
	v_fma_f64 v[60:61], v[159:160], s[10:11], -v[104:105]
	v_fma_f64 v[62:63], v[167:168], s[30:31], v[227:228]
	v_mul_f64 v[104:105], v[171:172], s[24:25]
	v_add_f64 v[20:21], v[20:21], v[231:232]
	v_add_f64 v[12:13], v[12:13], v[128:129]
	v_add_f64 v[14:15], v[14:15], v[219:220]
	v_add_f64 v[8:9], v[8:9], v[106:107]
	v_add_f64 v[10:11], v[10:11], v[142:143]
	v_fma_f64 v[106:107], v[159:160], s[22:23], -v[104:105]
	v_fma_f64 v[104:105], v[159:160], s[22:23], v[104:105]
	v_add_f64 v[12:13], v[124:125], v[12:13]
	v_mul_f64 v[124:125], v[155:156], s[50:51]
	v_add_f64 v[8:9], v[60:61], v[8:9]
	v_add_f64 v[6:7], v[106:107], v[6:7]
	;; [unrolled: 1-line block ×3, first 2 shown]
	v_mul_f64 v[104:105], v[155:156], s[24:25]
	v_fma_f64 v[126:127], v[157:158], s[10:11], -v[124:125]
	v_fma_f64 v[60:61], v[157:158], s[10:11], v[124:125]
	v_fma_f64 v[106:107], v[157:158], s[22:23], -v[104:105]
	v_fma_f64 v[104:105], v[157:158], s[22:23], v[104:105]
	v_add_f64 v[14:15], v[126:127], v[14:15]
	v_mul_f64 v[126:127], v[193:194], s[18:19]
	v_add_f64 v[10:11], v[60:61], v[10:11]
	v_fma_f64 v[128:129], v[187:188], s[20:21], v[126:127]
	v_fma_f64 v[60:61], v[187:188], s[20:21], -v[126:127]
	v_add_f64 v[12:13], v[128:129], v[12:13]
	v_mul_f64 v[128:129], v[199:200], s[18:19]
	v_add_f64 v[8:9], v[60:61], v[8:9]
	v_fma_f64 v[140:141], v[163:164], s[20:21], -v[128:129]
	v_fma_f64 v[60:61], v[163:164], s[20:21], v[128:129]
	v_add_f64 v[14:15], v[140:141], v[14:15]
	v_mul_f64 v[140:141], v[165:166], s[42:43]
	v_add_f64 v[10:11], v[60:61], v[10:11]
	v_fma_f64 v[205:206], v[197:198], s[36:37], v[140:141]
	v_fma_f64 v[60:61], v[197:198], s[36:37], -v[140:141]
	v_add_f64 v[12:13], v[205:206], v[12:13]
	v_mul_f64 v[205:206], v[185:186], s[42:43]
	v_add_f64 v[8:9], v[60:61], v[8:9]
	;; [unrolled: 10-line block ×4, first 2 shown]
	v_fma_f64 v[60:61], v[173:174], s[2:3], v[219:220]
	v_fma_f64 v[223:224], v[173:174], s[2:3], -v[219:220]
	v_add_f64 v[60:61], v[60:61], v[10:11]
	v_fma_f64 v[10:11], v[169:170], s[30:31], -v[225:226]
	v_add_f64 v[223:224], v[223:224], v[14:15]
	v_fma_f64 v[14:15], v[169:170], s[30:31], v[225:226]
	v_add_f64 v[10:11], v[10:11], v[8:9]
	v_add_f64 v[8:9], v[62:63], v[60:61]
	v_mul_f64 v[60:61], v[149:150], s[56:57]
	v_add_f64 v[14:15], v[14:15], v[12:13]
	v_fma_f64 v[12:13], v[167:168], s[30:31], -v[227:228]
	v_fma_f64 v[62:63], v[151:152], s[20:21], -v[60:61]
	v_fma_f64 v[60:61], v[151:152], s[20:21], v[60:61]
	v_add_f64 v[12:13], v[12:13], v[223:224]
	v_add_f64 v[62:63], v[62:63], v[221:222]
	;; [unrolled: 1-line block ×4, first 2 shown]
	v_mul_f64 v[106:107], v[193:194], s[46:47]
	v_add_f64 v[60:61], v[104:105], v[60:61]
	v_mul_f64 v[104:105], v[161:162], s[8:9]
	v_fma_f64 v[116:117], v[187:188], s[30:31], -v[106:107]
	v_fma_f64 v[106:107], v[187:188], s[30:31], v[106:107]
	v_add_f64 v[6:7], v[116:117], v[6:7]
	v_add_f64 v[4:5], v[106:107], v[4:5]
	v_mul_f64 v[106:107], v[199:200], s[46:47]
	v_fma_f64 v[116:117], v[163:164], s[30:31], -v[106:107]
	v_fma_f64 v[106:107], v[163:164], s[30:31], v[106:107]
	v_add_f64 v[62:63], v[116:117], v[62:63]
	v_mul_f64 v[116:117], v[165:166], s[8:9]
	v_add_f64 v[60:61], v[106:107], v[60:61]
	v_mul_f64 v[106:107], v[171:172], s[52:53]
	v_fma_f64 v[124:125], v[197:198], s[2:3], -v[116:117]
	v_fma_f64 v[116:117], v[197:198], s[2:3], v[116:117]
	v_add_f64 v[6:7], v[124:125], v[6:7]
	v_add_f64 v[4:5], v[116:117], v[4:5]
	v_mul_f64 v[116:117], v[185:186], s[8:9]
	v_fma_f64 v[124:125], v[175:176], s[2:3], -v[116:117]
	v_fma_f64 v[116:117], v[175:176], s[2:3], v[116:117]
	v_add_f64 v[62:63], v[124:125], v[62:63]
	v_mul_f64 v[124:125], v[179:180], s[42:43]
	v_add_f64 v[60:61], v[116:117], v[60:61]
	v_fma_f64 v[126:127], v[189:190], s[36:37], -v[124:125]
	v_fma_f64 v[124:125], v[189:190], s[36:37], v[124:125]
	v_add_f64 v[6:7], v[126:127], v[6:7]
	v_add_f64 v[4:5], v[124:125], v[4:5]
	v_mul_f64 v[124:125], v[195:196], s[42:43]
	s_mov_b32 s43, 0x3fc7851a
	s_mov_b32 s42, s8
	v_fma_f64 v[126:127], v[177:178], s[36:37], -v[124:125]
	v_fma_f64 v[124:125], v[177:178], s[36:37], v[124:125]
	v_add_f64 v[62:63], v[126:127], v[62:63]
	v_mul_f64 v[126:127], v[239:240], s[50:51]
	v_add_f64 v[60:61], v[124:125], v[60:61]
	v_mul_f64 v[124:125], v[149:150], s[28:29]
	v_fma_f64 v[128:129], v[181:182], s[10:11], -v[126:127]
	v_fma_f64 v[126:127], v[181:182], s[10:11], v[126:127]
	v_add_f64 v[6:7], v[128:129], v[6:7]
	v_fma_f64 v[128:129], v[153:154], s[2:3], v[104:105]
	v_add_f64 v[130:131], v[126:127], v[4:5]
	v_mul_f64 v[4:5], v[191:192], s[50:51]
	v_fma_f64 v[104:105], v[153:154], s[2:3], -v[104:105]
	v_add_f64 v[128:129], v[128:129], v[132:133]
	v_fma_f64 v[126:127], v[173:174], s[10:11], -v[4:5]
	v_add_f64 v[104:105], v[104:105], v[118:119]
	v_fma_f64 v[118:119], v[159:160], s[38:39], v[106:107]
	v_fma_f64 v[106:107], v[159:160], s[38:39], -v[106:107]
	v_fma_f64 v[4:5], v[173:174], s[10:11], v[4:5]
	v_add_f64 v[62:63], v[126:127], v[62:63]
	v_mul_f64 v[126:127], v[149:150], s[8:9]
	v_add_f64 v[118:119], v[118:119], v[128:129]
	v_add_f64 v[104:105], v[106:107], v[104:105]
	v_mul_f64 v[106:107], v[193:194], s[16:17]
	v_mul_f64 v[128:129], v[155:156], s[52:53]
	v_add_f64 v[60:61], v[4:5], v[60:61]
	v_mul_f64 v[4:5], v[239:240], s[54:55]
	v_fma_f64 v[132:133], v[151:152], s[2:3], -v[126:127]
	v_fma_f64 v[116:117], v[187:188], s[10:11], v[106:107]
	v_fma_f64 v[140:141], v[157:158], s[38:39], -v[128:129]
	v_fma_f64 v[106:107], v[187:188], s[10:11], -v[106:107]
	v_add_f64 v[132:133], v[132:133], v[246:247]
	v_add_f64 v[116:117], v[116:117], v[118:119]
	v_fma_f64 v[118:119], v[151:152], s[2:3], v[126:127]
	v_mul_f64 v[126:127], v[161:162], s[28:29]
	v_add_f64 v[104:105], v[106:107], v[104:105]
	v_mul_f64 v[106:107], v[165:166], s[46:47]
	v_add_f64 v[132:133], v[140:141], v[132:133]
	v_add_f64 v[118:119], v[118:119], v[146:147]
	v_fma_f64 v[140:141], v[153:154], s[26:27], v[126:127]
	v_fma_f64 v[126:127], v[153:154], s[26:27], -v[126:127]
	v_fma_f64 v[144:145], v[197:198], s[30:31], v[106:107]
	v_fma_f64 v[106:107], v[197:198], s[30:31], -v[106:107]
	v_add_f64 v[134:135], v[140:141], v[134:135]
	v_add_f64 v[120:121], v[126:127], v[120:121]
	v_fma_f64 v[126:127], v[157:158], s[38:39], v[128:129]
	v_mul_f64 v[140:141], v[199:200], s[16:17]
	v_add_f64 v[116:117], v[144:145], v[116:117]
	v_add_f64 v[104:105], v[106:107], v[104:105]
	v_mul_f64 v[106:107], v[179:180], s[18:19]
	v_add_f64 v[118:119], v[126:127], v[118:119]
	v_mul_f64 v[126:127], v[171:172], s[42:43]
	v_fma_f64 v[142:143], v[163:164], s[10:11], -v[140:141]
	v_fma_f64 v[128:129], v[159:160], s[2:3], v[126:127]
	v_fma_f64 v[126:127], v[159:160], s[2:3], -v[126:127]
	v_add_f64 v[132:133], v[142:143], v[132:133]
	v_fma_f64 v[142:143], v[151:152], s[26:27], -v[124:125]
	v_fma_f64 v[124:125], v[151:152], s[26:27], v[124:125]
	v_add_f64 v[128:129], v[128:129], v[134:135]
	v_mul_f64 v[134:135], v[185:186], s[46:47]
	v_add_f64 v[120:121], v[126:127], v[120:121]
	v_fma_f64 v[126:127], v[163:164], s[10:11], v[140:141]
	v_add_f64 v[142:143], v[142:143], v[248:249]
	v_add_f64 v[124:125], v[124:125], v[213:214]
	v_fma_f64 v[144:145], v[175:176], s[30:31], -v[134:135]
	v_add_f64 v[118:119], v[126:127], v[118:119]
	v_mul_f64 v[126:127], v[193:194], s[52:53]
	v_add_f64 v[132:133], v[144:145], v[132:133]
	v_mul_f64 v[144:145], v[155:156], s[42:43]
	v_fma_f64 v[140:141], v[187:188], s[38:39], v[126:127]
	v_fma_f64 v[146:147], v[157:158], s[2:3], -v[144:145]
	v_add_f64 v[128:129], v[140:141], v[128:129]
	v_mul_f64 v[140:141], v[195:196], s[18:19]
	v_add_f64 v[142:143], v[146:147], v[142:143]
	v_fma_f64 v[146:147], v[189:190], s[20:21], v[106:107]
	v_fma_f64 v[106:107], v[189:190], s[20:21], -v[106:107]
	v_add_f64 v[116:117], v[146:147], v[116:117]
	v_fma_f64 v[146:147], v[177:178], s[20:21], -v[140:141]
	v_add_f64 v[104:105], v[106:107], v[104:105]
	v_fma_f64 v[106:107], v[181:182], s[26:27], v[4:5]
	v_fma_f64 v[4:5], v[181:182], s[26:27], -v[4:5]
	v_add_f64 v[132:133], v[146:147], v[132:133]
	v_mul_f64 v[146:147], v[199:200], s[52:53]
	v_add_f64 v[104:105], v[4:5], v[104:105]
	v_fma_f64 v[205:206], v[163:164], s[38:39], -v[146:147]
	v_add_f64 v[142:143], v[205:206], v[142:143]
	v_add_f64 v[205:206], v[106:107], v[116:117]
	v_fma_f64 v[116:117], v[175:176], s[30:31], v[134:135]
	v_fma_f64 v[106:107], v[187:188], s[38:39], -v[126:127]
	v_mul_f64 v[126:127], v[191:192], s[54:55]
	v_add_f64 v[116:117], v[116:117], v[118:119]
	v_mul_f64 v[118:119], v[165:166], s[24:25]
	v_add_f64 v[106:107], v[106:107], v[120:121]
	v_fma_f64 v[4:5], v[197:198], s[22:23], -v[118:119]
	v_fma_f64 v[120:121], v[197:198], s[22:23], v[118:119]
	v_add_f64 v[4:5], v[4:5], v[106:107]
	v_fma_f64 v[106:107], v[177:178], s[20:21], v[140:141]
	v_add_f64 v[120:121], v[120:121], v[128:129]
	v_fma_f64 v[128:129], v[173:174], s[26:27], -v[126:127]
	v_fma_f64 v[126:127], v[173:174], s[26:27], v[126:127]
	v_add_f64 v[106:107], v[106:107], v[116:117]
	v_mul_f64 v[116:117], v[179:180], s[50:51]
	v_add_f64 v[132:133], v[128:129], v[132:133]
	v_fma_f64 v[128:129], v[157:158], s[2:3], v[144:145]
	v_mul_f64 v[144:145], v[149:150], s[48:49]
	v_fma_f64 v[118:119], v[189:190], s[10:11], v[116:117]
	v_fma_f64 v[116:117], v[189:190], s[10:11], -v[116:117]
	v_add_f64 v[124:125], v[128:129], v[124:125]
	v_mul_f64 v[128:129], v[185:186], s[24:25]
	v_add_f64 v[118:119], v[118:119], v[120:121]
	v_fma_f64 v[120:121], v[163:164], s[38:39], v[146:147]
	v_add_f64 v[4:5], v[116:117], v[4:5]
	v_fma_f64 v[116:117], v[175:176], s[22:23], v[128:129]
	v_fma_f64 v[134:135], v[175:176], s[22:23], -v[128:129]
	v_add_f64 v[120:121], v[120:121], v[124:125]
	v_mul_f64 v[124:125], v[195:196], s[50:51]
	v_add_f64 v[134:135], v[134:135], v[142:143]
	v_mul_f64 v[142:143], v[149:150], s[44:45]
	v_fma_f64 v[149:150], v[151:152], s[22:23], v[144:145]
	v_fma_f64 v[144:145], v[151:152], s[22:23], -v[144:145]
	v_add_f64 v[116:117], v[116:117], v[120:121]
	v_mul_f64 v[120:121], v[161:162], s[44:45]
	v_fma_f64 v[140:141], v[177:178], s[10:11], -v[124:125]
	v_fma_f64 v[124:125], v[177:178], s[10:11], v[124:125]
	v_fma_f64 v[146:147], v[151:152], s[36:37], v[142:143]
	v_fma_f64 v[142:143], v[151:152], s[36:37], -v[142:143]
	v_add_f64 v[112:113], v[144:145], v[112:113]
	v_fma_f64 v[128:129], v[153:154], s[36:37], -v[120:121]
	v_add_f64 v[134:135], v[140:141], v[134:135]
	v_fma_f64 v[120:121], v[153:154], s[36:37], v[120:121]
	v_add_f64 v[146:147], v[146:147], v[250:251]
	v_add_f64 v[116:117], v[124:125], v[116:117]
	v_mul_f64 v[124:125], v[201:202], s[24:25]
	v_add_f64 v[128:129], v[128:129], v[136:137]
	v_mul_f64 v[136:137], v[161:162], s[48:49]
	v_add_f64 v[120:121], v[120:121], v[122:123]
	v_add_f64 v[122:123], v[142:143], v[217:218]
	v_mul_f64 v[142:143], v[171:172], s[28:29]
	v_mul_f64 v[161:162], v[179:180], s[28:29]
	v_fma_f64 v[140:141], v[153:154], s[22:23], -v[136:137]
	v_fma_f64 v[136:137], v[153:154], s[22:23], v[136:137]
	v_mul_f64 v[153:154], v[155:156], s[46:47]
	v_add_f64 v[138:139], v[140:141], v[138:139]
	v_add_f64 v[114:115], v[136:137], v[114:115]
	v_mul_f64 v[136:137], v[155:156], s[28:29]
	v_add_f64 v[140:141], v[149:150], v[207:208]
	v_fma_f64 v[149:150], v[159:160], s[26:27], -v[142:143]
	v_fma_f64 v[142:143], v[159:160], s[26:27], v[142:143]
	v_fma_f64 v[155:156], v[157:158], s[26:27], v[136:137]
	v_fma_f64 v[136:137], v[157:158], s[26:27], -v[136:137]
	v_add_f64 v[128:129], v[149:150], v[128:129]
	v_mul_f64 v[149:150], v[171:172], s[46:47]
	v_add_f64 v[120:121], v[142:143], v[120:121]
	v_add_f64 v[144:145], v[155:156], v[146:147]
	;; [unrolled: 1-line block ×3, first 2 shown]
	v_mul_f64 v[136:137], v[193:194], s[8:9]
	v_fma_f64 v[151:152], v[159:160], s[30:31], -v[149:150]
	v_fma_f64 v[149:150], v[159:160], s[30:31], v[149:150]
	v_fma_f64 v[159:160], v[157:158], s[30:31], v[153:154]
	v_fma_f64 v[153:154], v[157:158], s[30:31], -v[153:154]
	v_fma_f64 v[142:143], v[187:188], s[2:3], -v[136:137]
	v_add_f64 v[138:139], v[151:152], v[138:139]
	v_add_f64 v[114:115], v[149:150], v[114:115]
	v_mul_f64 v[149:150], v[199:200], s[8:9]
	v_mul_f64 v[151:152], v[199:200], s[44:45]
	v_add_f64 v[140:141], v[159:160], v[140:141]
	v_fma_f64 v[136:137], v[187:188], s[2:3], v[136:137]
	v_add_f64 v[112:113], v[153:154], v[112:113]
	v_mul_f64 v[153:154], v[165:166], s[40:41]
	v_mul_f64 v[159:160], v[185:186], s[56:57]
	v_add_f64 v[128:129], v[142:143], v[128:129]
	v_mul_f64 v[142:143], v[193:194], s[44:45]
	v_fma_f64 v[193:194], v[167:168], s[22:23], -v[124:125]
	v_fma_f64 v[155:156], v[163:164], s[2:3], v[149:150]
	v_fma_f64 v[157:158], v[163:164], s[36:37], v[151:152]
	v_fma_f64 v[149:150], v[163:164], s[2:3], -v[149:150]
	v_fma_f64 v[151:152], v[163:164], s[36:37], -v[151:152]
	v_add_f64 v[120:121], v[136:137], v[120:121]
	v_mul_f64 v[136:137], v[179:180], s[52:53]
	v_mul_f64 v[163:164], v[195:196], s[28:29]
	v_fma_f64 v[146:147], v[187:188], s[36:37], -v[142:143]
	v_fma_f64 v[142:143], v[187:188], s[36:37], v[142:143]
	v_add_f64 v[144:145], v[155:156], v[144:145]
	v_add_f64 v[140:141], v[157:158], v[140:141]
	v_mul_f64 v[155:156], v[185:186], s[40:41]
	v_add_f64 v[122:123], v[149:150], v[122:123]
	v_fma_f64 v[149:150], v[197:198], s[38:39], -v[153:154]
	v_fma_f64 v[171:172], v[189:190], s[38:39], -v[136:137]
	v_add_f64 v[112:113], v[151:152], v[112:113]
	v_mul_f64 v[151:152], v[239:240], s[44:45]
	v_fma_f64 v[153:154], v[197:198], s[38:39], v[153:154]
	v_fma_f64 v[136:137], v[189:190], s[38:39], v[136:137]
	v_mul_f64 v[187:188], v[191:192], s[44:45]
	v_add_f64 v[132:133], v[193:194], v[132:133]
	v_add_f64 v[138:139], v[146:147], v[138:139]
	v_mul_f64 v[146:147], v[165:166], s[56:57]
	v_add_f64 v[114:115], v[142:143], v[114:115]
	v_mul_f64 v[165:166], v[195:196], s[52:53]
	v_fma_f64 v[142:143], v[175:176], s[38:39], v[155:156]
	v_fma_f64 v[155:156], v[175:176], s[38:39], -v[155:156]
	v_add_f64 v[138:139], v[149:150], v[138:139]
	v_fma_f64 v[157:158], v[197:198], s[20:21], -v[146:147]
	v_fma_f64 v[146:147], v[197:198], s[20:21], v[146:147]
	v_mul_f64 v[149:150], v[239:240], s[34:35]
	v_add_f64 v[140:141], v[142:143], v[140:141]
	v_add_f64 v[114:115], v[153:154], v[114:115]
	v_mul_f64 v[153:154], v[191:192], s[34:35]
	v_add_f64 v[112:113], v[155:156], v[112:113]
	v_add_f64 v[128:129], v[157:158], v[128:129]
	v_fma_f64 v[157:158], v[175:176], s[20:21], v[159:160]
	v_fma_f64 v[159:160], v[175:176], s[20:21], -v[159:160]
	v_add_f64 v[120:121], v[146:147], v[120:121]
	v_fma_f64 v[146:147], v[177:178], s[38:39], v[165:166]
	v_fma_f64 v[165:166], v[177:178], s[38:39], -v[165:166]
	v_fma_f64 v[185:186], v[181:182], s[30:31], -v[149:150]
	v_fma_f64 v[149:150], v[181:182], s[30:31], v[149:150]
	v_mul_f64 v[175:176], v[191:192], s[18:19]
	v_add_f64 v[128:129], v[171:172], v[128:129]
	v_add_f64 v[142:143], v[157:158], v[144:145]
	v_fma_f64 v[144:145], v[189:190], s[26:27], -v[161:162]
	v_add_f64 v[122:123], v[159:160], v[122:123]
	v_fma_f64 v[159:160], v[181:182], s[36:37], -v[151:152]
	v_mul_f64 v[171:172], v[239:240], s[18:19]
	v_fma_f64 v[157:158], v[177:178], s[26:27], v[163:164]
	v_fma_f64 v[163:164], v[177:178], s[26:27], -v[163:164]
	v_fma_f64 v[151:152], v[181:182], s[36:37], v[151:152]
	v_add_f64 v[120:121], v[136:137], v[120:121]
	v_fma_f64 v[136:137], v[173:174], s[30:31], v[153:154]
	v_fma_f64 v[153:154], v[173:174], s[30:31], -v[153:154]
	v_fma_f64 v[161:162], v[189:190], s[26:27], v[161:162]
	v_fma_f64 v[177:178], v[173:174], s[36:37], -v[187:188]
	v_add_f64 v[128:129], v[185:186], v[128:129]
	v_add_f64 v[142:143], v[146:147], v[142:143]
	;; [unrolled: 1-line block ×3, first 2 shown]
	v_mul_f64 v[144:145], v[183:184], s[28:29]
	v_mul_f64 v[146:147], v[183:184], s[24:25]
	v_add_f64 v[155:156], v[159:160], v[4:5]
	v_fma_f64 v[4:5], v[181:182], s[20:21], -v[171:172]
	v_add_f64 v[122:123], v[165:166], v[122:123]
	v_fma_f64 v[165:166], v[181:182], s[20:21], v[171:172]
	v_mul_f64 v[171:172], v[183:184], s[18:19]
	v_mul_f64 v[181:182], v[183:184], s[16:17]
	;; [unrolled: 1-line block ×3, first 2 shown]
	v_add_f64 v[112:113], v[163:164], v[112:113]
	v_add_f64 v[163:164], v[126:127], v[106:107]
	;; [unrolled: 1-line block ×3, first 2 shown]
	v_fma_f64 v[157:158], v[173:174], s[20:21], v[175:176]
	v_mul_f64 v[185:186], v[201:202], s[8:9]
	v_fma_f64 v[159:160], v[173:174], s[36:37], v[187:188]
	v_add_f64 v[114:115], v[161:162], v[114:115]
	v_mul_f64 v[161:162], v[201:202], s[16:17]
	v_mul_f64 v[187:188], v[201:202], s[18:19]
	v_fma_f64 v[173:174], v[173:174], s[20:21], -v[175:176]
	v_mul_f64 v[175:176], v[201:202], s[28:29]
	v_add_f64 v[136:137], v[136:137], v[142:143]
	v_add_f64 v[151:152], v[151:152], v[118:119]
	;; [unrolled: 1-line block ×3, first 2 shown]
	v_fma_f64 v[142:143], v[169:170], s[22:23], v[146:147]
	v_fma_f64 v[146:147], v[169:170], s[22:23], -v[146:147]
	v_add_f64 v[138:139], v[4:5], v[138:139]
	v_add_f64 v[153:154], v[153:154], v[122:123]
	v_fma_f64 v[4:5], v[169:170], s[26:27], -v[144:145]
	v_fma_f64 v[144:145], v[169:170], s[26:27], v[144:145]
	v_fma_f64 v[118:119], v[169:170], s[10:11], -v[181:182]
	v_fma_f64 v[126:127], v[169:170], s[2:3], -v[183:184]
	v_fma_f64 v[181:182], v[169:170], s[10:11], v[181:182]
	v_add_f64 v[149:150], v[149:150], v[120:121]
	v_add_f64 v[140:141], v[157:158], v[140:141]
	v_fma_f64 v[179:180], v[167:168], s[2:3], v[185:186]
	v_add_f64 v[157:158], v[159:160], v[116:117]
	v_fma_f64 v[116:117], v[169:170], s[20:21], -v[171:172]
	v_fma_f64 v[134:135], v[167:168], s[10:11], v[161:162]
	v_fma_f64 v[189:190], v[167:168], s[20:21], v[187:188]
	;; [unrolled: 1-line block ×4, first 2 shown]
	v_fma_f64 v[175:176], v[167:168], s[26:27], -v[175:176]
	v_fma_f64 v[171:172], v[169:170], s[20:21], v[171:172]
	v_fma_f64 v[169:170], v[169:170], s[2:3], v[183:184]
	v_fma_f64 v[183:184], v[167:168], s[20:21], -v[187:188]
	v_add_f64 v[165:166], v[165:166], v[114:115]
	v_add_f64 v[124:125], v[2:3], v[30:31]
	;; [unrolled: 1-line block ×4, first 2 shown]
	v_fma_f64 v[6:7], v[167:168], s[10:11], -v[161:162]
	v_fma_f64 v[161:162], v[167:168], s[2:3], -v[185:186]
	v_add_f64 v[122:123], v[126:127], v[138:139]
	v_add_f64 v[126:127], v[0:1], v[32:33]
	buffer_load_dword v1, off, s[60:63], 0 offset:28 ; 4-byte Folded Reload
	v_add_f64 v[167:168], v[173:174], v[112:113]
	v_add_f64 v[118:119], v[118:119], v[128:129]
	;; [unrolled: 1-line block ×10, first 2 shown]
	v_mov_b32_e32 v0, 4
	v_add_f64 v[134:135], v[142:143], v[205:206]
	v_add_f64 v[138:139], v[171:172], v[151:152]
	;; [unrolled: 1-line block ×7, first 2 shown]
	s_waitcnt vmcnt(0)
	v_lshlrev_b32_sdwa v0, v0, v1 dst_sel:DWORD dst_unused:UNUSED_PAD src0_sel:DWORD src1_sel:WORD_0
	ds_write_b128 v0, v[124:127]
	ds_write_b128 v0, v[120:123] offset:16
	ds_write_b128 v0, v[116:119] offset:32
	;; [unrolled: 1-line block ×16, first 2 shown]
.LBB0_17:
	s_or_b32 exec_lo, exec_lo, s1
	s_waitcnt lgkmcnt(0)
	s_barrier
	buffer_gl0_inv
	ds_read_b128 v[0:3], v255 offset:1632
	ds_read_b128 v[4:7], v255 offset:13056
	ds_read_b128 v[8:11], v255 offset:6528
	ds_read_b128 v[12:15], v255 offset:8160
	ds_read_b128 v[16:19], v255 offset:3264
	ds_read_b128 v[20:23], v255 offset:11424
	ds_read_b128 v[24:27], v255 offset:4896
	ds_read_b128 v[104:107], v255 offset:9792
	s_clause 0x7
	buffer_load_dword v32, off, s[60:63], 0 offset:56
	buffer_load_dword v33, off, s[60:63], 0 offset:60
	;; [unrolled: 1-line block ×8, first 2 shown]
	s_mov_b32 s8, 0x8c811c17
	s_mov_b32 s10, 0xa2cf5039
	s_mov_b32 s3, 0x3fe491b7
	s_mov_b32 s2, 0x523c161c
	s_mov_b32 s9, 0x3fef838b
	s_mov_b32 s11, 0x3fe8836f
	s_mov_b32 s16, 0x7e0b738b
	s_mov_b32 s17, 0x3fc63a1a
	s_waitcnt lgkmcnt(7)
	v_mul_f64 v[60:61], v[38:39], v[2:3]
	v_mul_f64 v[38:39], v[38:39], v[0:1]
	s_waitcnt lgkmcnt(6)
	v_mul_f64 v[62:63], v[46:47], v[6:7]
	v_mul_f64 v[46:47], v[46:47], v[4:5]
	;; [unrolled: 3-line block ×6, first 2 shown]
	v_fma_f64 v[60:61], v[36:37], v[0:1], v[60:61]
	v_fma_f64 v[36:37], v[36:37], v[2:3], -v[38:39]
	v_fma_f64 v[4:5], v[44:45], v[4:5], v[62:63]
	v_fma_f64 v[6:7], v[44:45], v[6:7], -v[46:47]
	;; [unrolled: 2-line block ×6, first 2 shown]
	ds_read_b128 v[0:3], v255
	s_waitcnt vmcnt(0) lgkmcnt(0)
	s_barrier
	buffer_gl0_inv
	v_add_f64 v[42:43], v[60:61], -v[4:5]
	v_add_f64 v[44:45], v[36:37], -v[6:7]
	v_add_f64 v[4:5], v[60:61], v[4:5]
	v_add_f64 v[6:7], v[36:37], v[6:7]
	;; [unrolled: 1-line block ×4, first 2 shown]
	v_add_f64 v[48:49], v[8:9], -v[12:13]
	v_add_f64 v[50:51], v[10:11], -v[14:15]
	v_add_f64 v[52:53], v[16:17], v[20:21]
	v_add_f64 v[54:55], v[18:19], v[22:23]
	v_add_f64 v[16:17], v[16:17], -v[20:21]
	v_add_f64 v[18:19], v[18:19], -v[22:23]
	v_mul_f64 v[20:21], v[42:43], s[2:3]
	v_mul_f64 v[22:23], v[44:45], s[2:3]
	s_mov_b32 s3, 0xbfe491b7
	v_mul_f64 v[56:57], v[48:49], s[8:9]
	v_mul_f64 v[58:59], v[50:51], s[8:9]
	v_fma_f64 v[60:61], v[52:53], s[10:11], v[0:1]
	v_fma_f64 v[62:63], v[54:55], s[10:11], v[2:3]
	v_add_f64 v[116:117], v[52:53], v[4:5]
	v_add_f64 v[118:119], v[54:55], v[6:7]
	v_fma_f64 v[20:21], v[16:17], s[8:9], v[20:21]
	v_fma_f64 v[22:23], v[18:19], s[8:9], v[22:23]
	v_add_f64 v[124:125], v[36:37], v[116:117]
	v_add_f64 v[126:127], v[46:47], v[118:119]
	v_mul_f64 v[38:39], v[34:35], v[26:27]
	v_mul_f64 v[34:35], v[34:35], v[24:25]
	;; [unrolled: 1-line block ×4, first 2 shown]
	v_fma_f64 v[24:25], v[32:33], v[24:25], v[38:39]
	v_fma_f64 v[26:27], v[32:33], v[26:27], -v[34:35]
	v_fma_f64 v[32:33], v[28:29], v[104:105], v[40:41]
	v_fma_f64 v[28:29], v[28:29], v[106:107], -v[30:31]
	v_fma_f64 v[30:31], v[4:5], s[10:11], v[0:1]
	v_fma_f64 v[34:35], v[6:7], s[10:11], v[2:3]
	;; [unrolled: 1-line block ×4, first 2 shown]
	v_mul_f64 v[104:105], v[50:51], s[2:3]
	v_mul_f64 v[106:107], v[48:49], s[2:3]
	s_mov_b32 s10, 0xe8584cab
	s_mov_b32 s11, 0x3febb67a
	v_add_f64 v[112:113], v[24:25], v[32:33]
	v_add_f64 v[114:115], v[26:27], v[28:29]
	v_add_f64 v[24:25], v[24:25], -v[32:33]
	v_add_f64 v[26:27], v[26:27], -v[28:29]
	v_fma_f64 v[28:29], v[52:53], s[16:17], v[30:31]
	v_fma_f64 v[30:31], v[54:55], s[16:17], v[34:35]
	;; [unrolled: 1-line block ×4, first 2 shown]
	v_fma_f64 v[38:39], v[16:17], s[2:3], -v[56:57]
	v_fma_f64 v[40:41], v[18:19], s[2:3], -v[58:59]
	v_fma_f64 v[56:57], v[36:37], s[16:17], v[60:61]
	v_fma_f64 v[58:59], v[46:47], s[16:17], v[62:63]
	;; [unrolled: 1-line block ×4, first 2 shown]
	v_add_f64 v[104:105], v[48:49], v[42:43]
	v_add_f64 v[106:107], v[50:51], v[44:45]
	s_mov_b32 s3, 0xbfebb67a
	s_mov_b32 s2, s10
	;; [unrolled: 1-line block ×6, first 2 shown]
	v_add_f64 v[120:121], v[0:1], v[112:113]
	v_add_f64 v[116:117], v[112:113], v[116:117]
	;; [unrolled: 1-line block ×4, first 2 shown]
	v_fma_f64 v[20:21], v[24:25], s[10:11], v[20:21]
	v_fma_f64 v[22:23], v[26:27], s[10:11], v[22:23]
	v_fma_f64 v[28:29], v[112:113], -0.5, v[28:29]
	v_fma_f64 v[30:31], v[114:115], -0.5, v[30:31]
	;; [unrolled: 1-line block ×4, first 2 shown]
	v_fma_f64 v[38:39], v[24:25], s[10:11], v[38:39]
	v_fma_f64 v[40:41], v[26:27], s[10:11], v[40:41]
	v_fma_f64 v[56:57], v[112:113], -0.5, v[56:57]
	v_fma_f64 v[58:59], v[114:115], -0.5, v[58:59]
	v_fma_f64 v[26:27], v[26:27], s[2:3], v[60:61]
	v_fma_f64 v[24:25], v[24:25], s[2:3], v[62:63]
	v_add_f64 v[60:61], v[104:105], -v[16:17]
	v_add_f64 v[62:63], v[106:107], -v[18:19]
	v_fma_f64 v[104:105], v[124:125], -0.5, v[120:121]
	v_add_f64 v[8:9], v[8:9], v[116:117]
	v_add_f64 v[10:11], v[10:11], v[118:119]
	v_fma_f64 v[106:107], v[126:127], -0.5, v[122:123]
	v_fma_f64 v[48:49], v[48:49], s[8:9], v[20:21]
	v_fma_f64 v[50:51], v[50:51], s[8:9], v[22:23]
	;; [unrolled: 1-line block ×12, first 2 shown]
	v_mul_f64 v[44:45], v[60:61], s[10:11]
	v_mul_f64 v[24:25], v[62:63], s[10:11]
	v_fma_f64 v[4:5], v[62:63], s[2:3], v[104:105]
	v_add_f64 v[26:27], v[12:13], v[8:9]
	v_add_f64 v[46:47], v[14:15], v[10:11]
	v_fma_f64 v[6:7], v[60:61], s[10:11], v[106:107]
	v_add_f64 v[8:9], v[20:21], -v[50:51]
	v_add_f64 v[10:11], v[48:49], v[22:23]
	v_add_f64 v[12:13], v[36:37], -v[34:35]
	v_add_f64 v[14:15], v[32:33], v[38:39]
	;; [unrolled: 2-line block ×3, first 2 shown]
	v_fma_f64 v[20:21], v[24:25], 2.0, v[4:5]
	v_add_f64 v[24:25], v[0:1], v[26:27]
	v_add_f64 v[26:27], v[2:3], v[46:47]
	v_fma_f64 v[22:23], v[44:45], -2.0, v[6:7]
	v_fma_f64 v[0:1], v[50:51], 2.0, v[8:9]
	v_fma_f64 v[2:3], v[48:49], -2.0, v[10:11]
	v_fma_f64 v[28:29], v[34:35], 2.0, v[12:13]
	;; [unrolled: 2-line block ×3, first 2 shown]
	v_fma_f64 v[34:35], v[42:43], -2.0, v[18:19]
	ds_write_b128 v148, v[4:7] offset:816
	ds_write_b128 v148, v[24:27]
	ds_write_b128 v148, v[8:11] offset:272
	ds_write_b128 v148, v[12:15] offset:1088
	;; [unrolled: 1-line block ×7, first 2 shown]
	s_waitcnt lgkmcnt(0)
	s_barrier
	buffer_gl0_inv
	ds_read_b128 v[8:11], v255
	ds_read_b128 v[12:15], v255 offset:1632
	ds_read_b128 v[24:27], v255 offset:7344
	;; [unrolled: 1-line block ×7, first 2 shown]
	s_and_saveexec_b32 s1, s0
	s_cbranch_execz .LBB0_19
; %bb.18:
	ds_read_b128 v[0:3], v255 offset:6528
	ds_read_b128 v[108:111], v255 offset:13872
.LBB0_19:
	s_or_b32 exec_lo, exec_lo, s1
	s_waitcnt lgkmcnt(5)
	v_mul_f64 v[36:37], v[70:71], v[26:27]
	v_mul_f64 v[38:39], v[70:71], v[24:25]
	s_waitcnt lgkmcnt(4)
	v_mul_f64 v[40:41], v[78:79], v[22:23]
	v_mul_f64 v[42:43], v[78:79], v[20:21]
	s_waitcnt lgkmcnt(0)
	s_barrier
	buffer_gl0_inv
	v_mul_f64 v[44:45], v[66:67], v[34:35]
	v_mul_f64 v[46:47], v[66:67], v[32:33]
	;; [unrolled: 1-line block ×4, first 2 shown]
	v_fma_f64 v[24:25], v[68:69], v[24:25], v[36:37]
	v_fma_f64 v[26:27], v[68:69], v[26:27], -v[38:39]
	v_fma_f64 v[36:37], v[76:77], v[20:21], v[40:41]
	v_fma_f64 v[38:39], v[76:77], v[22:23], -v[42:43]
	;; [unrolled: 2-line block ×4, first 2 shown]
	v_add_f64 v[20:21], v[8:9], -v[24:25]
	v_add_f64 v[22:23], v[10:11], -v[26:27]
	;; [unrolled: 1-line block ×8, first 2 shown]
	v_fma_f64 v[8:9], v[8:9], 2.0, -v[20:21]
	v_fma_f64 v[10:11], v[10:11], 2.0, -v[22:23]
	;; [unrolled: 1-line block ×4, first 2 shown]
	ds_write_b128 v255, v[20:23] offset:2448
	ds_write_b128 v255, v[8:11]
	buffer_load_dword v8, off, s[60:63], 0 offset:32 ; 4-byte Folded Reload
	v_fma_f64 v[16:17], v[16:17], 2.0, -v[28:29]
	v_fma_f64 v[18:19], v[18:19], 2.0, -v[30:31]
	;; [unrolled: 1-line block ×4, first 2 shown]
	s_waitcnt vmcnt(0)
	ds_write_b128 v8, v[12:15]
	ds_write_b128 v8, v[24:27] offset:2448
	ds_write_b128 v255, v[16:19] offset:5712
	;; [unrolled: 1-line block ×5, first 2 shown]
	s_and_saveexec_b32 s1, s0
	s_cbranch_execz .LBB0_21
; %bb.20:
	s_clause 0x3
	buffer_load_dword v8, off, s[60:63], 0 offset:72
	buffer_load_dword v9, off, s[60:63], 0 offset:76
	;; [unrolled: 1-line block ×4, first 2 shown]
	s_waitcnt vmcnt(0)
	v_mul_f64 v[4:5], v[10:11], v[108:109]
	v_mul_f64 v[6:7], v[10:11], v[110:111]
	v_fma_f64 v[4:5], v[8:9], v[110:111], -v[4:5]
	v_fma_f64 v[8:9], v[8:9], v[108:109], v[6:7]
	v_add_f64 v[6:7], v[2:3], -v[4:5]
	v_add_f64 v[4:5], v[0:1], -v[8:9]
	v_mov_b32_e32 v8, 4
	v_lshlrev_b32_sdwa v8, v8, v254 dst_sel:DWORD dst_unused:UNUSED_PAD src0_sel:DWORD src1_sel:WORD_0
	v_fma_f64 v[2:3], v[2:3], 2.0, -v[6:7]
	v_fma_f64 v[0:1], v[0:1], 2.0, -v[4:5]
	ds_write_b128 v8, v[0:3] offset:9792
	ds_write_b128 v8, v[4:7] offset:12240
.LBB0_21:
	s_or_b32 exec_lo, exec_lo, s1
	s_waitcnt lgkmcnt(0)
	s_barrier
	buffer_gl0_inv
	ds_read_b128 v[0:3], v255 offset:4896
	ds_read_b128 v[4:7], v255 offset:9792
	;; [unrolled: 1-line block ×7, first 2 shown]
	s_mov_b32 s0, 0xe8584caa
	s_mov_b32 s1, 0xbfebb67a
	s_mov_b32 s3, 0x3febb67a
	s_mov_b32 s2, s0
	s_waitcnt lgkmcnt(6)
	v_mul_f64 v[28:29], v[82:83], v[2:3]
	s_waitcnt lgkmcnt(5)
	v_mul_f64 v[30:31], v[86:87], v[6:7]
	v_mul_f64 v[32:33], v[82:83], v[0:1]
	v_mul_f64 v[34:35], v[86:87], v[4:5]
	s_waitcnt lgkmcnt(4)
	v_mul_f64 v[36:37], v[90:91], v[10:11]
	s_waitcnt lgkmcnt(3)
	v_mul_f64 v[38:39], v[94:95], v[14:15]
	v_mul_f64 v[40:41], v[90:91], v[8:9]
	v_mul_f64 v[42:43], v[94:95], v[12:13]
	;; [unrolled: 6-line block ×3, first 2 shown]
	v_fma_f64 v[28:29], v[80:81], v[0:1], v[28:29]
	v_fma_f64 v[30:31], v[84:85], v[4:5], v[30:31]
	v_fma_f64 v[32:33], v[80:81], v[2:3], -v[32:33]
	v_fma_f64 v[34:35], v[84:85], v[6:7], -v[34:35]
	v_fma_f64 v[8:9], v[88:89], v[8:9], v[36:37]
	v_fma_f64 v[12:13], v[92:93], v[12:13], v[38:39]
	v_fma_f64 v[10:11], v[88:89], v[10:11], -v[40:41]
	v_fma_f64 v[14:15], v[92:93], v[14:15], -v[42:43]
	;; [unrolled: 4-line block ×3, first 2 shown]
	ds_read_b128 v[0:3], v255
	ds_read_b128 v[4:7], v255 offset:1632
	v_add_f64 v[36:37], v[28:29], v[30:31]
	v_add_f64 v[38:39], v[32:33], v[34:35]
	v_add_f64 v[50:51], v[32:33], -v[34:35]
	v_add_f64 v[40:41], v[8:9], v[12:13]
	v_add_f64 v[62:63], v[8:9], -v[12:13]
	v_add_f64 v[42:43], v[10:11], v[14:15]
	s_waitcnt lgkmcnt(2)
	v_add_f64 v[56:57], v[24:25], v[16:17]
	v_add_f64 v[44:45], v[16:17], v[20:21]
	s_waitcnt lgkmcnt(1)
	v_add_f64 v[48:49], v[0:1], v[28:29]
	v_add_f64 v[46:47], v[18:19], v[22:23]
	;; [unrolled: 1-line block ×3, first 2 shown]
	s_waitcnt lgkmcnt(0)
	v_add_f64 v[52:53], v[4:5], v[8:9]
	v_add_f64 v[54:55], v[6:7], v[10:11]
	;; [unrolled: 1-line block ×3, first 2 shown]
	v_add_f64 v[28:29], v[28:29], -v[30:31]
	v_add_f64 v[60:61], v[10:11], -v[14:15]
	;; [unrolled: 1-line block ×4, first 2 shown]
	v_fma_f64 v[36:37], v[36:37], -0.5, v[0:1]
	v_fma_f64 v[38:39], v[38:39], -0.5, v[2:3]
	;; [unrolled: 1-line block ×4, first 2 shown]
	v_add_f64 v[8:9], v[56:57], v[20:21]
	v_fma_f64 v[44:45], v[44:45], -0.5, v[24:25]
	v_add_f64 v[0:1], v[48:49], v[30:31]
	v_fma_f64 v[46:47], v[46:47], -0.5, v[26:27]
	v_add_f64 v[2:3], v[32:33], v[34:35]
	v_add_f64 v[4:5], v[52:53], v[12:13]
	v_add_f64 v[6:7], v[54:55], v[14:15]
	v_add_f64 v[10:11], v[58:59], v[22:23]
	v_fma_f64 v[12:13], v[50:51], s[0:1], v[36:37]
	v_fma_f64 v[16:17], v[50:51], s[2:3], v[36:37]
	;; [unrolled: 1-line block ×12, first 2 shown]
	ds_write_b128 v255, v[0:3]
	ds_write_b128 v255, v[4:7] offset:1632
	ds_write_b128 v255, v[8:11] offset:3264
	;; [unrolled: 1-line block ×8, first 2 shown]
	s_waitcnt lgkmcnt(0)
	s_barrier
	buffer_gl0_inv
	s_and_b32 exec_lo, exec_lo, vcc_lo
	s_cbranch_execz .LBB0_23
; %bb.22:
	global_load_dwordx4 v[0:3], v255, s[12:13]
	ds_read_b128 v[4:7], v255
	ds_read_b128 v[8:11], v255 offset:864
	ds_read_b128 v[12:15], v255 offset:13824
	s_clause 0x2
	buffer_load_dword v18, off, s[60:63], 0 offset:4
	buffer_load_dword v19, off, s[60:63], 0 offset:8
	buffer_load_dword v21, off, s[60:63], 0
	s_mov_b32 s0, 0x672e4abd
	s_mov_b32 s1, 0x3f51d8f5
	s_mul_i32 s2, s5, 0x360
	s_mul_hi_u32 s3, s4, 0x360
	s_add_i32 s3, s3, s2
	v_add_co_u32 v22, s2, s12, v255
	v_add_co_ci_u32_e64 v23, null, s13, 0, s2
	s_waitcnt vmcnt(3) lgkmcnt(2)
	v_mul_f64 v[16:17], v[6:7], v[2:3]
	v_mul_f64 v[2:3], v[4:5], v[2:3]
	s_waitcnt vmcnt(2)
	v_mov_b32_e32 v20, v18
	s_waitcnt vmcnt(1)
	v_mad_u64_u32 v[18:19], null, s6, v20, 0
	v_fma_f64 v[4:5], v[4:5], v[0:1], v[16:17]
	v_fma_f64 v[2:3], v[0:1], v[6:7], -v[2:3]
	s_waitcnt vmcnt(0)
	v_mad_u64_u32 v[6:7], null, s4, v21, 0
	v_mov_b32_e32 v0, v19
	s_mulk_i32 s4, 0x360
	v_mov_b32_e32 v1, v7
	v_mad_u64_u32 v[16:17], null, s7, v20, v[0:1]
	v_mov_b32_e32 v19, v16
	v_mad_u64_u32 v[20:21], null, s5, v21, v[1:2]
	v_mul_f64 v[0:1], v[4:5], s[0:1]
	v_mul_f64 v[2:3], v[2:3], s[0:1]
	v_lshlrev_b64 v[4:5], 4, v[18:19]
	v_mov_b32_e32 v7, v20
	v_add_co_u32 v4, vcc_lo, s14, v4
	v_add_co_ci_u32_e32 v5, vcc_lo, s15, v5, vcc_lo
	v_lshlrev_b64 v[6:7], 4, v[6:7]
	v_add_co_u32 v4, vcc_lo, v4, v6
	v_add_co_ci_u32_e32 v5, vcc_lo, v5, v7, vcc_lo
	v_add_co_u32 v16, vcc_lo, v4, s4
	global_store_dwordx4 v[4:5], v[0:3], off
	global_load_dwordx4 v[0:3], v255, s[12:13] offset:864
	v_add_co_ci_u32_e32 v17, vcc_lo, s3, v5, vcc_lo
	s_waitcnt vmcnt(0) lgkmcnt(1)
	v_mul_f64 v[6:7], v[10:11], v[2:3]
	v_mul_f64 v[2:3], v[8:9], v[2:3]
	v_fma_f64 v[6:7], v[8:9], v[0:1], v[6:7]
	v_fma_f64 v[2:3], v[0:1], v[10:11], -v[2:3]
	v_mul_f64 v[0:1], v[6:7], s[0:1]
	v_mul_f64 v[2:3], v[2:3], s[0:1]
	global_store_dwordx4 v[16:17], v[0:3], off
	global_load_dwordx4 v[0:3], v255, s[12:13] offset:1728
	ds_read_b128 v[4:7], v255 offset:1728
	ds_read_b128 v[8:11], v255 offset:2592
	s_waitcnt vmcnt(0) lgkmcnt(1)
	v_mul_f64 v[18:19], v[6:7], v[2:3]
	v_mul_f64 v[2:3], v[4:5], v[2:3]
	v_fma_f64 v[4:5], v[4:5], v[0:1], v[18:19]
	v_fma_f64 v[2:3], v[0:1], v[6:7], -v[2:3]
	v_mul_f64 v[0:1], v[4:5], s[0:1]
	v_mul_f64 v[2:3], v[2:3], s[0:1]
	v_add_co_u32 v4, vcc_lo, v16, s4
	v_add_co_ci_u32_e32 v5, vcc_lo, s3, v17, vcc_lo
	v_add_co_u32 v6, vcc_lo, 0x800, v22
	v_add_co_ci_u32_e32 v7, vcc_lo, 0, v23, vcc_lo
	global_store_dwordx4 v[4:5], v[0:3], off
	global_load_dwordx4 v[0:3], v[6:7], off offset:544
	s_waitcnt vmcnt(0) lgkmcnt(0)
	v_mul_f64 v[16:17], v[10:11], v[2:3]
	v_mul_f64 v[2:3], v[8:9], v[2:3]
	v_fma_f64 v[8:9], v[8:9], v[0:1], v[16:17]
	v_fma_f64 v[2:3], v[0:1], v[10:11], -v[2:3]
	v_add_co_u32 v16, vcc_lo, v4, s4
	v_add_co_ci_u32_e32 v17, vcc_lo, s3, v5, vcc_lo
	v_mul_f64 v[0:1], v[8:9], s[0:1]
	v_mul_f64 v[2:3], v[2:3], s[0:1]
	global_store_dwordx4 v[16:17], v[0:3], off
	global_load_dwordx4 v[0:3], v[6:7], off offset:1408
	ds_read_b128 v[4:7], v255 offset:3456
	ds_read_b128 v[8:11], v255 offset:4320
	s_waitcnt vmcnt(0) lgkmcnt(1)
	v_mul_f64 v[18:19], v[6:7], v[2:3]
	v_mul_f64 v[2:3], v[4:5], v[2:3]
	v_fma_f64 v[4:5], v[4:5], v[0:1], v[18:19]
	v_fma_f64 v[2:3], v[0:1], v[6:7], -v[2:3]
	v_mul_f64 v[0:1], v[4:5], s[0:1]
	v_mul_f64 v[2:3], v[2:3], s[0:1]
	v_add_co_u32 v4, vcc_lo, v16, s4
	v_add_co_ci_u32_e32 v5, vcc_lo, s3, v17, vcc_lo
	v_add_co_u32 v16, vcc_lo, 0x1000, v22
	v_add_co_ci_u32_e32 v17, vcc_lo, 0, v23, vcc_lo
	;; [unrolled: 2-line block ×3, first 2 shown]
	global_store_dwordx4 v[4:5], v[0:3], off
	global_load_dwordx4 v[0:3], v[16:17], off offset:224
	s_waitcnt vmcnt(0) lgkmcnt(0)
	v_mul_f64 v[6:7], v[10:11], v[2:3]
	v_mul_f64 v[2:3], v[8:9], v[2:3]
	v_fma_f64 v[6:7], v[8:9], v[0:1], v[6:7]
	v_fma_f64 v[2:3], v[0:1], v[10:11], -v[2:3]
	v_mul_f64 v[0:1], v[6:7], s[0:1]
	v_mul_f64 v[2:3], v[2:3], s[0:1]
	global_store_dwordx4 v[18:19], v[0:3], off
	global_load_dwordx4 v[0:3], v[16:17], off offset:1088
	ds_read_b128 v[4:7], v255 offset:5184
	ds_read_b128 v[8:11], v255 offset:6048
	s_waitcnt vmcnt(0) lgkmcnt(1)
	v_mul_f64 v[20:21], v[6:7], v[2:3]
	v_mul_f64 v[2:3], v[4:5], v[2:3]
	v_fma_f64 v[4:5], v[4:5], v[0:1], v[20:21]
	v_fma_f64 v[2:3], v[0:1], v[6:7], -v[2:3]
	v_mul_f64 v[0:1], v[4:5], s[0:1]
	v_mul_f64 v[2:3], v[2:3], s[0:1]
	v_add_co_u32 v4, vcc_lo, v18, s4
	v_add_co_ci_u32_e32 v5, vcc_lo, s3, v19, vcc_lo
	global_store_dwordx4 v[4:5], v[0:3], off
	global_load_dwordx4 v[0:3], v[16:17], off offset:1952
	v_add_co_u32 v16, vcc_lo, v4, s4
	v_add_co_ci_u32_e32 v17, vcc_lo, s3, v5, vcc_lo
	v_add_co_u32 v18, vcc_lo, 0x1800, v22
	v_add_co_ci_u32_e32 v19, vcc_lo, 0, v23, vcc_lo
	s_waitcnt vmcnt(0) lgkmcnt(0)
	v_mul_f64 v[6:7], v[10:11], v[2:3]
	v_mul_f64 v[2:3], v[8:9], v[2:3]
	v_fma_f64 v[6:7], v[8:9], v[0:1], v[6:7]
	v_fma_f64 v[2:3], v[0:1], v[10:11], -v[2:3]
	v_mul_f64 v[0:1], v[6:7], s[0:1]
	v_mul_f64 v[2:3], v[2:3], s[0:1]
	global_store_dwordx4 v[16:17], v[0:3], off
	global_load_dwordx4 v[0:3], v[18:19], off offset:768
	ds_read_b128 v[4:7], v255 offset:6912
	ds_read_b128 v[8:11], v255 offset:7776
	s_waitcnt vmcnt(0) lgkmcnt(1)
	v_mul_f64 v[20:21], v[6:7], v[2:3]
	v_mul_f64 v[2:3], v[4:5], v[2:3]
	v_fma_f64 v[4:5], v[4:5], v[0:1], v[20:21]
	v_fma_f64 v[2:3], v[0:1], v[6:7], -v[2:3]
	v_mul_f64 v[0:1], v[4:5], s[0:1]
	v_mul_f64 v[2:3], v[2:3], s[0:1]
	v_add_co_u32 v4, vcc_lo, v16, s4
	v_add_co_ci_u32_e32 v5, vcc_lo, s3, v17, vcc_lo
	v_add_co_u32 v16, vcc_lo, v4, s4
	v_add_co_ci_u32_e32 v17, vcc_lo, s3, v5, vcc_lo
	global_store_dwordx4 v[4:5], v[0:3], off
	global_load_dwordx4 v[0:3], v[18:19], off offset:1632
	v_add_co_u32 v18, vcc_lo, 0x2000, v22
	v_add_co_ci_u32_e32 v19, vcc_lo, 0, v23, vcc_lo
	s_waitcnt vmcnt(0) lgkmcnt(0)
	v_mul_f64 v[6:7], v[10:11], v[2:3]
	v_mul_f64 v[2:3], v[8:9], v[2:3]
	v_fma_f64 v[6:7], v[8:9], v[0:1], v[6:7]
	v_fma_f64 v[2:3], v[0:1], v[10:11], -v[2:3]
	v_mul_f64 v[0:1], v[6:7], s[0:1]
	v_mul_f64 v[2:3], v[2:3], s[0:1]
	global_store_dwordx4 v[16:17], v[0:3], off
	global_load_dwordx4 v[0:3], v[18:19], off offset:448
	ds_read_b128 v[4:7], v255 offset:8640
	ds_read_b128 v[8:11], v255 offset:9504
	s_waitcnt vmcnt(0) lgkmcnt(1)
	v_mul_f64 v[20:21], v[6:7], v[2:3]
	v_mul_f64 v[2:3], v[4:5], v[2:3]
	v_fma_f64 v[4:5], v[4:5], v[0:1], v[20:21]
	v_fma_f64 v[2:3], v[0:1], v[6:7], -v[2:3]
	v_mul_f64 v[0:1], v[4:5], s[0:1]
	v_mul_f64 v[2:3], v[2:3], s[0:1]
	v_add_co_u32 v4, vcc_lo, v16, s4
	v_add_co_ci_u32_e32 v5, vcc_lo, s3, v17, vcc_lo
	v_add_co_u32 v16, vcc_lo, v4, s4
	v_add_co_ci_u32_e32 v17, vcc_lo, s3, v5, vcc_lo
	global_store_dwordx4 v[4:5], v[0:3], off
	global_load_dwordx4 v[0:3], v[18:19], off offset:1312
	v_add_co_u32 v18, vcc_lo, 0x2800, v22
	v_add_co_ci_u32_e32 v19, vcc_lo, 0, v23, vcc_lo
	s_waitcnt vmcnt(0) lgkmcnt(0)
	v_mul_f64 v[6:7], v[10:11], v[2:3]
	v_mul_f64 v[2:3], v[8:9], v[2:3]
	v_fma_f64 v[6:7], v[8:9], v[0:1], v[6:7]
	v_fma_f64 v[2:3], v[0:1], v[10:11], -v[2:3]
	v_mul_f64 v[0:1], v[6:7], s[0:1]
	v_mul_f64 v[2:3], v[2:3], s[0:1]
	global_store_dwordx4 v[16:17], v[0:3], off
	global_load_dwordx4 v[0:3], v[18:19], off offset:128
	ds_read_b128 v[4:7], v255 offset:10368
	ds_read_b128 v[8:11], v255 offset:11232
	s_waitcnt vmcnt(0) lgkmcnt(1)
	v_mul_f64 v[20:21], v[6:7], v[2:3]
	v_mul_f64 v[2:3], v[4:5], v[2:3]
	v_fma_f64 v[4:5], v[4:5], v[0:1], v[20:21]
	v_fma_f64 v[2:3], v[0:1], v[6:7], -v[2:3]
	v_mul_f64 v[0:1], v[4:5], s[0:1]
	v_mul_f64 v[2:3], v[2:3], s[0:1]
	v_add_co_u32 v4, vcc_lo, v16, s4
	v_add_co_ci_u32_e32 v5, vcc_lo, s3, v17, vcc_lo
	v_add_co_u32 v16, vcc_lo, v4, s4
	v_add_co_ci_u32_e32 v17, vcc_lo, s3, v5, vcc_lo
	global_store_dwordx4 v[4:5], v[0:3], off
	global_load_dwordx4 v[0:3], v[18:19], off offset:992
	s_waitcnt vmcnt(0) lgkmcnt(0)
	v_mul_f64 v[6:7], v[10:11], v[2:3]
	v_mul_f64 v[2:3], v[8:9], v[2:3]
	v_fma_f64 v[6:7], v[8:9], v[0:1], v[6:7]
	v_fma_f64 v[2:3], v[0:1], v[10:11], -v[2:3]
	v_mul_f64 v[0:1], v[6:7], s[0:1]
	v_mul_f64 v[2:3], v[2:3], s[0:1]
	global_store_dwordx4 v[16:17], v[0:3], off
	global_load_dwordx4 v[0:3], v[18:19], off offset:1856
	ds_read_b128 v[4:7], v255 offset:12096
	ds_read_b128 v[8:11], v255 offset:12960
	s_waitcnt vmcnt(0) lgkmcnt(1)
	v_mul_f64 v[18:19], v[6:7], v[2:3]
	v_mul_f64 v[2:3], v[4:5], v[2:3]
	v_fma_f64 v[4:5], v[4:5], v[0:1], v[18:19]
	v_fma_f64 v[2:3], v[0:1], v[6:7], -v[2:3]
	v_mul_f64 v[0:1], v[4:5], s[0:1]
	v_mul_f64 v[2:3], v[2:3], s[0:1]
	v_add_co_u32 v4, vcc_lo, v16, s4
	v_add_co_ci_u32_e32 v5, vcc_lo, s3, v17, vcc_lo
	v_add_co_u32 v6, vcc_lo, 0x3000, v22
	v_add_co_ci_u32_e32 v7, vcc_lo, 0, v23, vcc_lo
	global_store_dwordx4 v[4:5], v[0:3], off
	global_load_dwordx4 v[0:3], v[6:7], off offset:672
	v_add_co_u32 v4, vcc_lo, v4, s4
	v_add_co_ci_u32_e32 v5, vcc_lo, s3, v5, vcc_lo
	s_waitcnt vmcnt(0) lgkmcnt(0)
	v_mul_f64 v[16:17], v[10:11], v[2:3]
	v_mul_f64 v[2:3], v[8:9], v[2:3]
	v_fma_f64 v[8:9], v[8:9], v[0:1], v[16:17]
	v_fma_f64 v[2:3], v[0:1], v[10:11], -v[2:3]
	v_mul_f64 v[0:1], v[8:9], s[0:1]
	v_mul_f64 v[2:3], v[2:3], s[0:1]
	global_store_dwordx4 v[4:5], v[0:3], off
	global_load_dwordx4 v[0:3], v[6:7], off offset:1536
	v_add_co_u32 v4, vcc_lo, v4, s4
	v_add_co_ci_u32_e32 v5, vcc_lo, s3, v5, vcc_lo
	s_waitcnt vmcnt(0)
	v_mul_f64 v[6:7], v[14:15], v[2:3]
	v_mul_f64 v[2:3], v[12:13], v[2:3]
	v_fma_f64 v[6:7], v[12:13], v[0:1], v[6:7]
	v_fma_f64 v[2:3], v[0:1], v[14:15], -v[2:3]
	v_mul_f64 v[0:1], v[6:7], s[0:1]
	v_mul_f64 v[2:3], v[2:3], s[0:1]
	global_store_dwordx4 v[4:5], v[0:3], off
.LBB0_23:
	s_endpgm
	.section	.rodata,"a",@progbits
	.p2align	6, 0x0
	.amdhsa_kernel bluestein_single_fwd_len918_dim1_dp_op_CI_CI
		.amdhsa_group_segment_fixed_size 14688
		.amdhsa_private_segment_fixed_size 636
		.amdhsa_kernarg_size 104
		.amdhsa_user_sgpr_count 6
		.amdhsa_user_sgpr_private_segment_buffer 1
		.amdhsa_user_sgpr_dispatch_ptr 0
		.amdhsa_user_sgpr_queue_ptr 0
		.amdhsa_user_sgpr_kernarg_segment_ptr 1
		.amdhsa_user_sgpr_dispatch_id 0
		.amdhsa_user_sgpr_flat_scratch_init 0
		.amdhsa_user_sgpr_private_segment_size 0
		.amdhsa_wavefront_size32 1
		.amdhsa_uses_dynamic_stack 0
		.amdhsa_system_sgpr_private_segment_wavefront_offset 1
		.amdhsa_system_sgpr_workgroup_id_x 1
		.amdhsa_system_sgpr_workgroup_id_y 0
		.amdhsa_system_sgpr_workgroup_id_z 0
		.amdhsa_system_sgpr_workgroup_info 0
		.amdhsa_system_vgpr_workitem_id 0
		.amdhsa_next_free_vgpr 256
		.amdhsa_next_free_sgpr 64
		.amdhsa_reserve_vcc 1
		.amdhsa_reserve_flat_scratch 0
		.amdhsa_float_round_mode_32 0
		.amdhsa_float_round_mode_16_64 0
		.amdhsa_float_denorm_mode_32 3
		.amdhsa_float_denorm_mode_16_64 3
		.amdhsa_dx10_clamp 1
		.amdhsa_ieee_mode 1
		.amdhsa_fp16_overflow 0
		.amdhsa_workgroup_processor_mode 1
		.amdhsa_memory_ordered 1
		.amdhsa_forward_progress 0
		.amdhsa_shared_vgpr_count 0
		.amdhsa_exception_fp_ieee_invalid_op 0
		.amdhsa_exception_fp_denorm_src 0
		.amdhsa_exception_fp_ieee_div_zero 0
		.amdhsa_exception_fp_ieee_overflow 0
		.amdhsa_exception_fp_ieee_underflow 0
		.amdhsa_exception_fp_ieee_inexact 0
		.amdhsa_exception_int_div_zero 0
	.end_amdhsa_kernel
	.text
.Lfunc_end0:
	.size	bluestein_single_fwd_len918_dim1_dp_op_CI_CI, .Lfunc_end0-bluestein_single_fwd_len918_dim1_dp_op_CI_CI
                                        ; -- End function
	.section	.AMDGPU.csdata,"",@progbits
; Kernel info:
; codeLenInByte = 28244
; NumSgprs: 66
; NumVgprs: 256
; ScratchSize: 636
; MemoryBound: 0
; FloatMode: 240
; IeeeMode: 1
; LDSByteSize: 14688 bytes/workgroup (compile time only)
; SGPRBlocks: 8
; VGPRBlocks: 31
; NumSGPRsForWavesPerEU: 66
; NumVGPRsForWavesPerEU: 256
; Occupancy: 4
; WaveLimiterHint : 1
; COMPUTE_PGM_RSRC2:SCRATCH_EN: 1
; COMPUTE_PGM_RSRC2:USER_SGPR: 6
; COMPUTE_PGM_RSRC2:TRAP_HANDLER: 0
; COMPUTE_PGM_RSRC2:TGID_X_EN: 1
; COMPUTE_PGM_RSRC2:TGID_Y_EN: 0
; COMPUTE_PGM_RSRC2:TGID_Z_EN: 0
; COMPUTE_PGM_RSRC2:TIDIG_COMP_CNT: 0
	.text
	.p2alignl 6, 3214868480
	.fill 48, 4, 3214868480
	.type	__hip_cuid_426966c59873ad39,@object ; @__hip_cuid_426966c59873ad39
	.section	.bss,"aw",@nobits
	.globl	__hip_cuid_426966c59873ad39
__hip_cuid_426966c59873ad39:
	.byte	0                               ; 0x0
	.size	__hip_cuid_426966c59873ad39, 1

	.ident	"AMD clang version 19.0.0git (https://github.com/RadeonOpenCompute/llvm-project roc-6.4.0 25133 c7fe45cf4b819c5991fe208aaa96edf142730f1d)"
	.section	".note.GNU-stack","",@progbits
	.addrsig
	.addrsig_sym __hip_cuid_426966c59873ad39
	.amdgpu_metadata
---
amdhsa.kernels:
  - .args:
      - .actual_access:  read_only
        .address_space:  global
        .offset:         0
        .size:           8
        .value_kind:     global_buffer
      - .actual_access:  read_only
        .address_space:  global
        .offset:         8
        .size:           8
        .value_kind:     global_buffer
      - .actual_access:  read_only
        .address_space:  global
        .offset:         16
        .size:           8
        .value_kind:     global_buffer
      - .actual_access:  read_only
        .address_space:  global
        .offset:         24
        .size:           8
        .value_kind:     global_buffer
      - .actual_access:  read_only
        .address_space:  global
        .offset:         32
        .size:           8
        .value_kind:     global_buffer
      - .offset:         40
        .size:           8
        .value_kind:     by_value
      - .address_space:  global
        .offset:         48
        .size:           8
        .value_kind:     global_buffer
      - .address_space:  global
        .offset:         56
        .size:           8
        .value_kind:     global_buffer
      - .address_space:  global
        .offset:         64
        .size:           8
        .value_kind:     global_buffer
      - .address_space:  global
        .offset:         72
        .size:           8
        .value_kind:     global_buffer
      - .offset:         80
        .size:           4
        .value_kind:     by_value
      - .address_space:  global
        .offset:         88
        .size:           8
        .value_kind:     global_buffer
      - .address_space:  global
        .offset:         96
        .size:           8
        .value_kind:     global_buffer
    .group_segment_fixed_size: 14688
    .kernarg_segment_align: 8
    .kernarg_segment_size: 104
    .language:       OpenCL C
    .language_version:
      - 2
      - 0
    .max_flat_workgroup_size: 102
    .name:           bluestein_single_fwd_len918_dim1_dp_op_CI_CI
    .private_segment_fixed_size: 636
    .sgpr_count:     66
    .sgpr_spill_count: 0
    .symbol:         bluestein_single_fwd_len918_dim1_dp_op_CI_CI.kd
    .uniform_work_group_size: 1
    .uses_dynamic_stack: false
    .vgpr_count:     256
    .vgpr_spill_count: 165
    .wavefront_size: 32
    .workgroup_processor_mode: 1
amdhsa.target:   amdgcn-amd-amdhsa--gfx1030
amdhsa.version:
  - 1
  - 2
...

	.end_amdgpu_metadata
